;; amdgpu-corpus repo=ROCm/rocFFT kind=compiled arch=gfx950 opt=O3
	.text
	.amdgcn_target "amdgcn-amd-amdhsa--gfx950"
	.amdhsa_code_object_version 6
	.protected	bluestein_single_back_len2160_dim1_sp_op_CI_CI ; -- Begin function bluestein_single_back_len2160_dim1_sp_op_CI_CI
	.globl	bluestein_single_back_len2160_dim1_sp_op_CI_CI
	.p2align	8
	.type	bluestein_single_back_len2160_dim1_sp_op_CI_CI,@function
bluestein_single_back_len2160_dim1_sp_op_CI_CI: ; @bluestein_single_back_len2160_dim1_sp_op_CI_CI
; %bb.0:
	s_load_dwordx4 s[8:11], s[0:1], 0x28
	v_mul_u32_u24_e32 v1, 0x445, v0
	v_mov_b32_e32 v139, 0
	v_add_u32_sdwa v6, s2, v1 dst_sel:DWORD dst_unused:UNUSED_PAD src0_sel:DWORD src1_sel:WORD_1
	v_mov_b32_e32 v7, v139
	s_waitcnt lgkmcnt(0)
	v_cmp_gt_u64_e32 vcc, s[8:9], v[6:7]
	s_and_saveexec_b64 s[2:3], vcc
	s_cbranch_execz .LBB0_15
; %bb.1:
	s_load_dwordx4 s[4:7], s[0:1], 0x18
	s_load_dwordx2 s[12:13], s[0:1], 0x0
	v_mov_b32_e32 v2, s10
	v_mov_b32_e32 v3, s11
	;; [unrolled: 1-line block ×3, first 2 shown]
	s_waitcnt lgkmcnt(0)
	s_load_dwordx4 s[8:11], s[4:5], 0x0
	v_mul_lo_u16_sdwa v1, v1, v4 dst_sel:DWORD dst_unused:UNUSED_PAD src0_sel:WORD_1 src1_sel:DWORD
	v_sub_u16_e32 v138, v0, v1
	v_accvgpr_write_b32 a66, v6
	v_lshlrev_b32_e32 v216, 3, v138
	s_waitcnt lgkmcnt(0)
	v_mad_u64_u32 v[0:1], s[2:3], s10, v6, 0
	v_mov_b32_e32 v4, v1
	v_mad_u64_u32 v[4:5], s[2:3], s11, v6, v[4:5]
	v_mad_u64_u32 v[6:7], s[2:3], s8, v138, 0
	v_mov_b32_e32 v1, v4
	v_mov_b32_e32 v4, v7
	v_mad_u64_u32 v[4:5], s[2:3], s9, v138, v[4:5]
	v_mov_b32_e32 v7, v4
	v_lshl_add_u64 v[4:5], v[0:1], 3, v[2:3]
	s_mul_i32 s2, s9, 0xd8
	s_mul_hi_u32 s3, s8, 0xd8
	v_lshl_add_u64 v[0:1], v[6:7], 3, v[4:5]
	s_add_i32 s3, s3, s2
	s_mul_i32 s2, s8, 0xd8
	global_load_dwordx2 v[32:33], v216, s[12:13]
	global_load_dwordx2 v[20:21], v[0:1], off
	s_lshl_b64 s[14:15], s[2:3], 3
	v_lshl_add_u64 v[0:1], v[0:1], 0, s[14:15]
	global_load_dwordx2 v[54:55], v216, s[12:13] offset:1728
	global_load_dwordx2 v[14:15], v[0:1], off
	v_mov_b32_e32 v217, v139
	v_lshl_add_u64 v[50:51], s[12:13], 0, v[216:217]
	s_movk_i32 s2, 0x1000
	v_lshl_add_u64 v[0:1], v[0:1], 0, s[14:15]
	global_load_dwordx2 v[56:57], v216, s[12:13] offset:3456
	v_add_co_u32_e32 v2, vcc, s2, v50
	v_lshl_add_u64 v[6:7], v[0:1], 0, s[14:15]
	global_load_dwordx2 v[22:23], v[0:1], off
	global_load_dwordx2 v[12:13], v[6:7], off
	v_addc_co_u32_e32 v3, vcc, 0, v51, vcc
	global_load_dwordx2 v[42:43], v[2:3], off offset:1088
	v_lshl_add_u64 v[0:1], v[6:7], 0, s[14:15]
	global_load_dwordx2 v[16:17], v[0:1], off
	global_load_dwordx2 v[40:41], v[2:3], off offset:2816
	s_movk_i32 s2, 0x2000
	v_lshl_add_u64 v[6:7], v[0:1], 0, s[14:15]
	v_add_co_u32_e32 v0, vcc, s2, v50
	v_or_b32_e32 v25, 0x6c0, v138
	s_nop 0
	v_addc_co_u32_e32 v1, vcc, 0, v51, vcc
	global_load_dwordx2 v[36:37], v[0:1], off offset:448
	global_load_dwordx2 v[8:9], v[6:7], off
	v_lshl_add_u64 v[6:7], v[6:7], 0, s[14:15]
	global_load_dwordx2 v[34:35], v[0:1], off offset:2176
	global_load_dwordx2 v[48:49], v[0:1], off offset:3904
	global_load_dwordx2 v[10:11], v[6:7], off
	v_lshl_add_u64 v[26:27], v[6:7], 0, s[14:15]
	global_load_dwordx2 v[18:19], v[26:27], off
	v_mad_u64_u32 v[6:7], s[2:3], s8, v25, 0
	v_mov_b32_e32 v24, v7
	v_lshlrev_b32_e32 v215, 3, v25
	v_accvgpr_write_b32 a18, v25
	v_mad_u64_u32 v[24:25], s[2:3], s9, v25, v[24:25]
	v_mov_b32_e32 v7, v24
	v_mov_b32_e32 v44, 0xd80
	s_movk_i32 s16, 0x3000
	v_lshl_add_u64 v[6:7], v[6:7], 3, v[4:5]
	s_mul_hi_u32 s2, s8, 0xfffff8a4
	s_load_dwordx4 s[4:7], s[6:7], 0x0
	global_load_dwordx2 v[38:39], v215, s[12:13]
	global_load_dwordx2 v[46:47], v216, s[12:13] offset:480
	global_load_dwordx2 v[24:25], v[6:7], off
	global_load_dwordx2 v[52:53], v216, s[12:13] offset:960
	v_add_co_u32_e32 v6, vcc, s16, v50
	s_mul_i32 s18, s9, 0xd80
	s_sub_i32 s17, s2, s8
	v_mad_u64_u32 v[26:27], s[2:3], s8, v44, v[26:27]
	v_addc_co_u32_e32 v7, vcc, 0, v51, vcc
	v_add_u32_e32 v27, s18, v27
	global_load_dwordx2 v[68:69], v[6:7], off offset:3264
	global_load_dwordx2 v[28:29], v[26:27], off
	s_mul_i32 s16, s9, 0xfffff8a4
	s_add_i32 s17, s17, s16
	s_mul_i32 s16, s8, 0xfffff8a4
	s_lshl_b64 s[2:3], s[16:17], 3
	v_lshl_add_u64 v[26:27], v[26:27], 0, s[2:3]
	v_accvgpr_write_b32 a0, v50
	v_accvgpr_write_b32 a1, v51
	s_load_dwordx2 s[10:11], s[0:1], 0x38
	s_waitcnt vmcnt(21)
	v_accvgpr_write_b32 a43, v33
	s_waitcnt vmcnt(20)
	v_mul_f32_e32 v30, v21, v33
	v_mul_f32_e32 v31, v20, v33
	v_fmac_f32_e32 v30, v20, v32
	s_waitcnt vmcnt(18)
	v_mul_f32_e32 v20, v15, v55
	v_fmac_f32_e32 v20, v14, v54
	v_mul_f32_e32 v14, v14, v55
	v_accvgpr_write_b32 a42, v32
	v_fma_f32 v31, v21, v32, -v31
	global_load_dwordx2 v[32:33], v[26:27], off
	v_fma_f32 v21, v15, v54, -v14
	v_accvgpr_write_b32 a38, v54
	s_waitcnt vmcnt(17)
	v_mul_f32_e32 v14, v23, v57
	v_mul_f32_e32 v15, v22, v57
	ds_write_b64 v216, v[20:21] offset:1728
	v_fmac_f32_e32 v14, v22, v56
	v_fma_f32 v15, v23, v56, -v15
	v_accvgpr_write_b32 a39, v55
	global_load_dwordx2 v[76:77], v216, s[12:13] offset:2208
	global_load_dwordx2 v[66:67], v216, s[12:13] offset:3936
	;; [unrolled: 1-line block ×3, first 2 shown]
	ds_write_b64 v216, v[14:15] offset:3456
	s_waitcnt vmcnt(18)
	v_mul_f32_e32 v14, v13, v43
	v_fmac_f32_e32 v14, v12, v42
	v_mul_f32_e32 v12, v12, v43
	v_accvgpr_write_b32 a36, v56
	v_fma_f32 v15, v13, v42, -v12
	s_waitcnt vmcnt(16)
	v_mul_f32_e32 v12, v17, v41
	v_mul_f32_e32 v13, v16, v41
	v_accvgpr_write_b32 a37, v57
	global_load_dwordx2 v[74:75], v[2:3], off offset:1568
	global_load_dwordx2 v[56:57], v[2:3], off offset:320
	ds_write_b64 v216, v[14:15] offset:5184
	v_fmac_f32_e32 v12, v16, v40
	v_fma_f32 v13, v17, v40, -v13
	v_lshl_add_u64 v[14:15], v[26:27], 0, s[14:15]
	global_load_dwordx2 v[16:17], v[14:15], off
	ds_write_b64 v216, v[12:13] offset:6912
	v_lshl_add_u64 v[14:15], v[14:15], 0, s[14:15]
	global_load_dwordx2 v[70:71], v[0:1], off offset:928
	global_load_dwordx2 v[58:59], v[0:1], off offset:1408
	global_load_dwordx2 v[20:21], v[14:15], off
	s_waitcnt vmcnt(20)
	v_mul_f32_e32 v12, v9, v37
	v_fmac_f32_e32 v12, v8, v36
	v_mul_f32_e32 v8, v8, v37
	v_fma_f32 v13, v9, v36, -v8
	v_lshl_add_u64 v[8:9], v[14:15], 0, s[14:15]
	s_waitcnt vmcnt(17)
	v_mul_f32_e32 v14, v11, v35
	v_fmac_f32_e32 v14, v10, v34
	v_mul_f32_e32 v10, v10, v35
	v_fma_f32 v15, v11, v34, -v10
	s_waitcnt vmcnt(16)
	v_mul_f32_e32 v10, v19, v49
	v_mul_f32_e32 v11, v18, v49
	ds_write_b64 v216, v[12:13] offset:8640
	ds_write_b64 v216, v[14:15] offset:10368
	v_fmac_f32_e32 v10, v18, v48
	v_fma_f32 v11, v19, v48, -v11
	global_load_dwordx2 v[12:13], v[8:9], off
	global_load_dwordx2 v[84:85], v[0:1], off offset:2656
	global_load_dwordx2 v[60:61], v[0:1], off offset:3136
	ds_write_b64 v216, v[10:11] offset:12096
	v_lshl_add_u64 v[8:9], v[8:9], 0, s[14:15]
	global_load_dwordx2 v[10:11], v[8:9], off
	global_load_dwordx2 v[86:87], v[2:3], off offset:3296
	global_load_dwordx2 v[82:83], v[6:7], off offset:288
	;; [unrolled: 1-line block ×4, first 2 shown]
	v_lshl_add_u64 v[8:9], v[8:9], 0, s[14:15]
	s_waitcnt vmcnt(21)
	v_mul_f32_e32 v14, v25, v39
	global_load_dwordx2 v[18:19], v[8:9], off
	v_mul_f32_e32 v15, v24, v39
	v_lshl_add_u64 v[8:9], v[8:9], 0, s[14:15]
	v_fmac_f32_e32 v14, v24, v38
	global_load_dwordx2 v[22:23], v[8:9], off
	v_fma_f32 v15, v25, v38, -v15
	v_lshl_add_u64 v[8:9], v[8:9], 0, s[14:15]
	ds_write_b64 v216, v[14:15] offset:13824
	global_load_dwordx2 v[14:15], v[8:9], off
	v_lshl_add_u64 v[8:9], v[8:9], 0, s[14:15]
	v_accvgpr_write_b32 a20, v34
	global_load_dwordx2 v[24:25], v[8:9], off
	global_load_dwordx2 v[80:81], v[6:7], off offset:3744
	global_load_dwordx2 v[64:65], v[6:7], off offset:2496
	s_waitcnt vmcnt(24)
	v_mul_f32_e32 v26, v29, v69
	v_lshl_add_u64 v[8:9], v[8:9], 0, s[14:15]
	v_mul_f32_e32 v27, v28, v69
	v_accvgpr_write_b32 a21, v35
	v_fmac_f32_e32 v26, v28, v68
	global_load_dwordx2 v[34:35], v[8:9], off
	v_fma_f32 v27, v29, v68, -v27
	v_lshl_add_u64 v[8:9], v[8:9], 0, s[2:3]
	v_accvgpr_write_b32 a30, v40
	global_load_dwordx2 v[28:29], v[8:9], off
	ds_write_b64 v216, v[26:27] offset:15552
	v_or_b32_e32 v27, 0x300, v138
	v_accvgpr_write_b32 a32, v42
	v_accvgpr_write_b32 a31, v41
	;; [unrolled: 1-line block ×3, first 2 shown]
	v_lshl_add_u64 v[8:9], v[8:9], 0, s[14:15]
	v_mad_u64_u32 v[40:41], s[2:3], s8, v27, 0
	v_accvgpr_write_b32 a33, v43
	v_accvgpr_write_b32 a25, v37
	global_load_dwordx2 v[36:37], v[8:9], off
	v_mov_b32_e32 v42, v41
	v_accvgpr_write_b32 a26, v38
	v_lshl_add_u64 v[8:9], v[8:9], 0, s[14:15]
	v_mad_u64_u32 v[42:43], s[2:3], s9, v27, v[42:43]
	v_accvgpr_write_b32 a27, v39
	global_load_dwordx2 v[38:39], v[8:9], off
	v_mov_b32_e32 v41, v42
	v_lshl_add_u64 v[4:5], v[40:41], 3, v[4:5]
	v_lshlrev_b32_e32 v214, 3, v27
	global_load_dwordx2 v[40:41], v[4:5], off
	global_load_dwordx2 v[72:73], v214, s[12:13]
	v_mad_u64_u32 v[4:5], s[2:3], s8, v44, v[8:9]
	v_accvgpr_write_b32 a62, v68
	v_add_u32_e32 v5, s18, v5
	v_accvgpr_write_b32 a63, v69
	s_waitcnt vmcnt(29)
	v_mul_f32_e32 v26, v33, v47
	global_load_dwordx2 v[42:43], v[4:5], off
	global_load_dwordx2 v[68:69], v[2:3], off offset:3776
	v_mul_f32_e32 v8, v32, v47
	v_accvgpr_write_b32 a19, v27
	v_fmac_f32_e32 v26, v32, v46
	v_fma_f32 v27, v33, v46, -v8
	v_lshl_add_u64 v[4:5], v[4:5], 0, s[14:15]
	ds_write2_b64 v216, v[30:31], v[26:27] offset1:60
	global_load_dwordx2 v[30:31], v[4:5], off
	v_lshl_add_u64 v[4:5], v[4:5], 0, s[14:15]
	global_load_dwordx2 v[32:33], v[4:5], off
	v_lshl_add_u64 v[4:5], v[4:5], 0, s[14:15]
	s_waitcnt vmcnt(27)
	v_mul_f32_e32 v8, v16, v77
	global_load_dwordx2 v[44:45], v[4:5], off
	v_accvgpr_write_b32 a16, v46
	v_fma_f32 v27, v17, v76, -v8
	s_waitcnt vmcnt(25)
	v_mul_f32_e32 v8, v20, v67
	v_lshl_add_u64 v[4:5], v[4:5], 0, s[14:15]
	s_movk_i32 s2, 0x4000
	v_accvgpr_write_b32 a17, v47
	v_mul_f32_e32 v26, v17, v77
	v_fma_f32 v17, v21, v66, -v8
	global_load_dwordx2 v[46:47], v[4:5], off
	v_add_co_u32_e32 v8, vcc, s2, v50
	v_accvgpr_write_b32 a34, v48
	v_fmac_f32_e32 v26, v16, v76
	v_mul_f32_e32 v16, v21, v67
	v_accvgpr_write_b32 a50, v66
	v_lshl_add_u64 v[4:5], v[4:5], 0, s[14:15]
	v_addc_co_u32_e32 v9, vcc, 0, v51, vcc
	v_accvgpr_write_b32 a35, v49
	v_fmac_f32_e32 v16, v20, v66
	v_accvgpr_write_b32 a51, v67
	global_load_dwordx2 v[48:49], v[4:5], off
	global_load_dwordx2 v[66:67], v[8:9], off offset:128
	s_waitcnt vmcnt(27)
	v_mul_f32_e32 v8, v12, v75
	v_fma_f32 v21, v13, v74, -v8
	s_waitcnt vmcnt(23)
	v_mul_f32_e32 v8, v10, v87
	v_mul_f32_e32 v20, v13, v75
	v_fma_f32 v13, v11, v86, -v8
	s_waitcnt vmcnt(19)
	v_mul_f32_e32 v8, v18, v71
	v_fma_f32 v51, v19, v70, -v8
	s_waitcnt vmcnt(18)
	v_mul_f32_e32 v8, v22, v85
	v_mul_f32_e32 v50, v19, v71
	v_fma_f32 v19, v23, v84, -v8
	s_waitcnt vmcnt(17)
	v_mul_f32_e32 v8, v14, v83
	v_fmac_f32_e32 v50, v18, v70
	v_mul_f32_e32 v18, v23, v85
	v_fma_f32 v23, v15, v82, -v8
	s_waitcnt vmcnt(16)
	v_mul_f32_e32 v8, v24, v79
	v_fmac_f32_e32 v18, v22, v84
	;; [unrolled: 5-line block ×3, first 2 shown]
	v_mul_f32_e32 v14, v25, v79
	v_fma_f32 v25, v35, v80, -v8
	s_waitcnt vmcnt(12)
	v_mul_f32_e32 v8, v29, v53
	v_mul_f32_e32 v9, v28, v53
	v_fmac_f32_e32 v20, v12, v74
	v_mul_f32_e32 v12, v11, v87
	v_fmac_f32_e32 v8, v28, v52
	v_fma_f32 v9, v29, v52, -v9
	v_fmac_f32_e32 v12, v10, v86
	ds_write_b64 v216, v[8:9] offset:960
	s_waitcnt vmcnt(11)
	v_mul_f32_e32 v10, v37, v55
	v_mul_f32_e32 v8, v36, v55
	v_fmac_f32_e32 v10, v36, v54
	v_fma_f32 v11, v37, v54, -v8
	v_add_u32_e32 v8, 0x800, v216
	ds_write2_b64 v8, v[26:27], v[10:11] offset0:20 offset1:80
	s_waitcnt vmcnt(10)
	v_mul_f32_e32 v10, v39, v57
	v_mul_f32_e32 v9, v38, v57
	v_fmac_f32_e32 v10, v38, v56
	v_fma_f32 v11, v39, v56, -v9
	v_add_u32_e32 v9, 0xc00, v216
	ds_write2_b64 v9, v[16:17], v[10:11] offset0:108 offset1:168
	s_waitcnt vmcnt(8)
	v_mul_f32_e32 v10, v41, v73
	v_mul_f32_e32 v9, v40, v73
	v_fmac_f32_e32 v10, v40, v72
	v_fma_f32 v11, v41, v72, -v9
	v_add_u32_e32 v9, 0x1400, v216
	ds_write2_b64 v9, v[20:21], v[10:11] offset0:68 offset1:128
	s_waitcnt vmcnt(6)
	v_mul_f32_e32 v16, v43, v69
	v_mul_f32_e32 v10, v42, v69
	v_fmac_f32_e32 v16, v42, v68
	v_fma_f32 v17, v43, v68, -v10
	v_add_u32_e32 v11, 0x1800, v216
	ds_write2_b64 v11, v[12:13], v[16:17] offset0:156 offset1:216
	s_waitcnt vmcnt(5)
	v_mul_f32_e32 v12, v31, v59
	v_mul_f32_e32 v10, v30, v59
	v_fmac_f32_e32 v12, v30, v58
	v_fma_f32 v13, v31, v58, -v10
	v_add_u32_e32 v10, 0x2000, v216
	ds_write2_b64 v10, v[50:51], v[12:13] offset0:116 offset1:176
	s_waitcnt vmcnt(4)
	v_mul_f32_e32 v16, v33, v61
	v_mul_f32_e32 v12, v32, v61
	v_fmac_f32_e32 v16, v32, v60
	v_fma_f32 v17, v33, v60, -v12
	v_add_u32_e32 v13, 0x2800, v216
	ds_write2_b64 v13, v[18:19], v[16:17] offset0:76 offset1:136
	s_waitcnt vmcnt(3)
	v_mul_f32_e32 v16, v45, v63
	v_mul_f32_e32 v12, v44, v63
	v_fmac_f32_e32 v16, v44, v62
	v_fma_f32 v17, v45, v62, -v12
	v_add_u32_e32 v12, 0x3000, v216
	ds_write2_b64 v12, v[22:23], v[16:17] offset0:36 offset1:96
	s_waitcnt vmcnt(2)
	v_mul_f32_e32 v16, v47, v65
	v_mul_f32_e32 v17, v46, v65
	v_fmac_f32_e32 v14, v24, v78
	v_fmac_f32_e32 v16, v46, v64
	v_fma_f32 v17, v47, v64, -v17
	v_add_u32_e32 v18, 0x3400, v216
	v_accvgpr_write_b32 a52, v76
	v_accvgpr_write_b32 a48, v74
	;; [unrolled: 1-line block ×7, first 2 shown]
	v_mul_f32_e32 v24, v35, v81
	v_accvgpr_write_b32 a56, v80
	v_accvgpr_write_b32 a2, v52
	;; [unrolled: 1-line block ×10, first 2 shown]
	ds_write2_b64 v18, v[14:15], v[16:17] offset0:124 offset1:184
	s_waitcnt vmcnt(0)
	v_mul_f32_e32 v16, v49, v67
	v_mul_f32_e32 v14, v48, v67
	v_accvgpr_write_b32 a28, v66
	v_accvgpr_write_b32 a53, v77
	;; [unrolled: 1-line block ×8, first 2 shown]
	v_fmac_f32_e32 v24, v34, v80
	v_accvgpr_write_b32 a57, v81
	v_accvgpr_write_b32 a3, v53
	v_accvgpr_write_b32 a5, v55
	v_accvgpr_write_b32 a7, v57
	v_accvgpr_write_b32 a47, v73
	v_accvgpr_write_b32 a41, v69
	v_accvgpr_write_b32 a9, v59
	v_accvgpr_write_b32 a11, v61
	v_accvgpr_write_b32 a13, v63
	v_accvgpr_write_b32 a15, v65
	v_fmac_f32_e32 v16, v48, v66
	v_accvgpr_write_b32 a29, v67
	v_fma_f32 v17, v49, v66, -v14
	v_add_u32_e32 v14, 0x3c00, v216
	v_cmp_gt_u16_e64 s[2:3], 36, v138
	ds_write2_b64 v14, v[24:25], v[16:17] offset0:84 offset1:144
	s_and_saveexec_b64 s[8:9], s[2:3]
	s_cbranch_execz .LBB0_3
; %bb.2:
	v_accvgpr_read_b32 v49, a1
	v_lshl_add_u64 v[4:5], s[16:17], 3, v[4:5]
	v_accvgpr_read_b32 v48, a0
	global_load_dwordx2 v[16:17], v[4:5], off
	global_load_dwordx2 v[18:19], v[48:49], off offset:1440
	v_lshl_add_u64 v[4:5], v[4:5], 0, s[14:15]
	global_load_dwordx2 v[20:21], v[4:5], off
	global_load_dwordx2 v[22:23], v[48:49], off offset:3168
	v_lshl_add_u64 v[4:5], v[4:5], 0, s[14:15]
	global_load_dwordx2 v[24:25], v[4:5], off
	global_load_dwordx2 v[26:27], v[2:3], off offset:800
	global_load_dwordx2 v[28:29], v[2:3], off offset:2528
	v_lshl_add_u64 v[2:3], v[4:5], 0, s[14:15]
	global_load_dwordx2 v[4:5], v[2:3], off
	v_lshl_add_u64 v[2:3], v[2:3], 0, s[14:15]
	global_load_dwordx2 v[30:31], v[2:3], off
	global_load_dwordx2 v[32:33], v[0:1], off offset:160
	v_lshl_add_u64 v[2:3], v[2:3], 0, s[14:15]
	global_load_dwordx2 v[34:35], v[2:3], off
	global_load_dwordx2 v[36:37], v[0:1], off offset:1888
	;; [unrolled: 3-line block ×3, first 2 shown]
	global_load_dwordx2 v[42:43], v[6:7], off offset:1248
	global_load_dwordx2 v[44:45], v[6:7], off offset:2976
	v_lshl_add_u64 v[0:1], v[2:3], 0, s[14:15]
	global_load_dwordx2 v[2:3], v[0:1], off
	v_add_co_u32_e32 v6, vcc, 0x4000, v48
	v_lshl_add_u64 v[0:1], v[0:1], 0, s[14:15]
	global_load_dwordx2 v[46:47], v[0:1], off
	v_addc_co_u32_e32 v7, vcc, 0, v49, vcc
	v_lshl_add_u64 v[0:1], v[0:1], 0, s[14:15]
	global_load_dwordx2 v[6:7], v[6:7], off offset:608
	v_add_u32_e32 v15, 0x500, v216
	global_load_dwordx2 v[0:1], v[0:1], off
	v_add_u32_e32 v50, 0x1200, v216
	v_add_u32_e32 v51, 0x2e00, v216
	s_waitcnt vmcnt(18)
	v_mul_f32_e32 v48, v17, v19
	v_mul_f32_e32 v19, v16, v19
	v_fmac_f32_e32 v48, v16, v18
	v_fma_f32 v49, v17, v18, -v19
	s_waitcnt vmcnt(16)
	v_mul_f32_e32 v16, v21, v23
	v_mul_f32_e32 v17, v20, v23
	v_fmac_f32_e32 v16, v20, v22
	v_fma_f32 v17, v21, v22, -v17
	s_waitcnt vmcnt(14)
	v_mul_f32_e32 v18, v25, v27
	v_mul_f32_e32 v19, v24, v27
	ds_write2_b64 v15, v[48:49], v[16:17] offset0:20 offset1:236
	s_waitcnt vmcnt(12)
	v_mul_f32_e32 v16, v5, v29
	v_mul_f32_e32 v15, v4, v29
	v_fmac_f32_e32 v18, v24, v26
	v_fma_f32 v19, v25, v26, -v19
	v_fmac_f32_e32 v16, v4, v28
	v_fma_f32 v17, v5, v28, -v15
	s_waitcnt vmcnt(10)
	v_mul_f32_e32 v4, v31, v33
	v_mul_f32_e32 v5, v30, v33
	ds_write2_b64 v50, v[18:19], v[16:17] offset0:36 offset1:252
	s_waitcnt vmcnt(8)
	v_mul_f32_e32 v16, v35, v37
	v_mul_f32_e32 v15, v34, v37
	v_fmac_f32_e32 v4, v30, v32
	v_fma_f32 v5, v31, v32, -v5
	;; [unrolled: 11-line block ×4, first 2 shown]
	v_fmac_f32_e32 v4, v0, v6
	v_fma_f32 v5, v1, v6, -v5
	v_add_u32_e32 v0, 0x3b00, v216
	ds_write2_b64 v0, v[2:3], v[4:5] offset0:20 offset1:236
.LBB0_3:
	s_or_b64 exec, exec, s[8:9]
	v_add_u32_e32 v0, 0x1000, v216
	s_waitcnt lgkmcnt(0)
	; wave barrier
	s_waitcnt lgkmcnt(0)
	ds_read2_b64 v[68:71], v216 offset1:60
	ds_read2_b64 v[48:51], v216 offset0:120 offset1:216
	ds_read2_b64 v[72:75], v8 offset0:176 offset1:236
	;; [unrolled: 1-line block ×4, first 2 shown]
	v_add_u32_e32 v0, 0x1c00, v216
	ds_read2_b64 v[56:59], v0 offset0:88 offset1:184
	ds_read2_b64 v[80:83], v13 offset0:16 offset1:76
	;; [unrolled: 1-line block ×4, first 2 shown]
	v_add_u32_e32 v0, 0x3800, v216
	ds_read2_b64 v[64:67], v0 offset0:56 offset1:152
	ds_read2_b64 v[28:31], v8 offset0:20 offset1:80
	;; [unrolled: 1-line block ×6, first 2 shown]
	s_load_dwordx2 s[14:15], s[0:1], 0x8
                                        ; implicit-def: $vgpr8
                                        ; implicit-def: $vgpr16
                                        ; implicit-def: $vgpr24
                                        ; implicit-def: $vgpr20
                                        ; implicit-def: $vgpr12
                                        ; implicit-def: $vgpr0
                                        ; implicit-def: $vgpr2
                                        ; implicit-def: $vgpr4
                                        ; implicit-def: $vgpr6
                                        ; implicit-def: $vgpr10
	s_and_saveexec_b64 s[0:1], s[2:3]
	s_cbranch_execz .LBB0_5
; %bb.4:
	v_add_u32_e32 v0, 0x500, v216
	ds_read2_b64 v[12:15], v0 offset0:20 offset1:236
	v_add_u32_e32 v0, 0x1200, v216
	ds_read2_b64 v[8:11], v0 offset0:36 offset1:252
	;; [unrolled: 2-line block ×5, first 2 shown]
	s_waitcnt lgkmcnt(0)
	v_mov_b32_e32 v0, v19
	v_mov_b32_e32 v1, v18
	;; [unrolled: 1-line block ×10, first 2 shown]
.LBB0_5:
	s_or_b64 exec, exec, s[0:1]
	s_mov_b64 s[0:1], 0x78
	v_pk_add_f32 v[14:15], v[16:17], v[20:21]
	s_mov_b32 s8, 0x3f737871
	v_lshl_add_u64 v[98:99], v[138:139], 0, s[0:1]
	s_mov_b64 s[0:1], 0xb4
	v_pk_add_f32 v[22:23], v[8:9], v[24:25] neg_lo:[0,1] neg_hi:[0,1]
	v_pk_fma_f32 v[14:15], v[14:15], 0.5, v[12:13] op_sel_hi:[1,0,1] neg_lo:[1,0,0] neg_hi:[1,0,0]
	s_mov_b32 s9, 0xbf737871
	v_lshl_add_u64 v[96:97], v[138:139], 0, s[0:1]
	v_pk_add_f32 v[26:27], v[16:17], v[20:21] neg_lo:[0,1] neg_hi:[0,1]
	v_pk_fma_f32 v[130:131], v[22:23], s[8:9], v[14:15] op_sel:[1,0,0] op_sel_hi:[0,0,1]
	v_pk_fma_f32 v[14:15], v[22:23], s[8:9], v[14:15] op_sel:[1,0,0] op_sel_hi:[0,0,1] neg_lo:[1,0,0] neg_hi:[1,0,0]
	s_mov_b32 s0, 0x3f167918
	v_pk_add_f32 v[18:19], v[8:9], v[16:17] neg_lo:[0,1] neg_hi:[0,1]
	v_pk_add_f32 v[88:89], v[24:25], v[20:21] neg_lo:[0,1] neg_hi:[0,1]
	v_pk_fma_f32 v[14:15], v[26:27], s[0:1], v[14:15] op_sel:[1,0,0] op_sel_hi:[0,0,1] neg_lo:[1,0,0] neg_hi:[1,0,0]
	v_pk_fma_f32 v[130:131], v[26:27], s[0:1], v[130:131] op_sel:[1,0,0] op_sel_hi:[0,0,1]
	v_pk_add_f32 v[90:91], v[8:9], v[24:25]
	v_mov_b32_e32 v132, v130
	v_mov_b32_e32 v133, v15
	v_pk_add_f32 v[88:89], v[18:19], v[88:89]
	s_mov_b32 s16, 0x3e9e377a
	v_mov_b32_e32 v15, v131
	v_pk_fma_f32 v[18:19], v[88:89], s[16:17], v[132:133] op_sel_hi:[1,0,1]
	v_pk_fma_f32 v[14:15], v[88:89], s[16:17], v[14:15] op_sel_hi:[1,0,1]
	v_pk_fma_f32 v[88:89], v[90:91], 0.5, v[12:13] op_sel_hi:[1,0,1] neg_lo:[1,0,0] neg_hi:[1,0,0]
	v_pk_add_f32 v[92:93], v[16:17], v[8:9] neg_lo:[0,1] neg_hi:[0,1]
	v_pk_fma_f32 v[90:91], v[26:27], s[8:9], v[88:89] op_sel:[1,0,0] op_sel_hi:[0,0,1] neg_lo:[1,0,0] neg_hi:[1,0,0]
	v_pk_fma_f32 v[26:27], v[26:27], s[8:9], v[88:89] op_sel:[1,0,0] op_sel_hi:[0,0,1]
	v_pk_add_f32 v[94:95], v[20:21], v[24:25] neg_lo:[0,1] neg_hi:[0,1]
	v_pk_add_f32 v[124:125], v[0:1], v[4:5]
	v_pk_fma_f32 v[26:27], v[22:23], s[0:1], v[26:27] op_sel:[1,0,0] op_sel_hi:[0,0,1] neg_lo:[1,0,0] neg_hi:[1,0,0]
	v_pk_fma_f32 v[88:89], v[22:23], s[0:1], v[90:91] op_sel:[1,0,0] op_sel_hi:[0,0,1]
	v_pk_add_f32 v[112:113], v[2:3], v[6:7] neg_lo:[0,1] neg_hi:[0,1]
	v_mov_b32_e32 v22, v88
	v_mov_b32_e32 v23, v27
	v_pk_add_f32 v[90:91], v[92:93], v[94:95]
	v_mov_b32_e32 v27, v89
	v_pk_fma_f32 v[88:89], v[124:125], 0.5, v[10:11] op_sel_hi:[1,0,1] neg_lo:[1,0,0] neg_hi:[1,0,0]
	v_pk_add_f32 v[114:115], v[0:1], v[4:5] neg_lo:[0,1] neg_hi:[0,1]
	v_pk_add_f32 v[116:117], v[2:3], v[0:1] neg_lo:[0,1] neg_hi:[0,1]
	;; [unrolled: 1-line block ×3, first 2 shown]
	v_pk_fma_f32 v[22:23], v[90:91], s[16:17], v[22:23] op_sel_hi:[1,0,1]
	v_pk_fma_f32 v[26:27], v[90:91], s[16:17], v[26:27] op_sel_hi:[1,0,1]
	v_pk_fma_f32 v[90:91], v[112:113], s[8:9], v[88:89] op_sel:[1,0,0] op_sel_hi:[0,0,1]
	v_pk_fma_f32 v[88:89], v[112:113], s[8:9], v[88:89] op_sel:[1,0,0] op_sel_hi:[0,0,1] neg_lo:[1,0,0] neg_hi:[1,0,0]
	v_pk_add_f32 v[128:129], v[2:3], v[6:7]
	v_pk_add_f32 v[92:93], v[116:117], v[118:119]
	v_pk_fma_f32 v[90:91], v[114:115], s[0:1], v[90:91] op_sel:[1,0,0] op_sel_hi:[0,0,1]
	v_pk_fma_f32 v[88:89], v[114:115], s[0:1], v[88:89] op_sel:[1,0,0] op_sel_hi:[0,0,1] neg_lo:[1,0,0] neg_hi:[1,0,0]
	v_pk_fma_f32 v[94:95], v[92:93], s[16:17], v[90:91] op_sel_hi:[1,0,1]
	v_pk_fma_f32 v[116:117], v[92:93], s[16:17], v[88:89] op_sel_hi:[1,0,1]
	v_mov_b32_e32 v91, v89
	v_pk_fma_f32 v[88:89], v[128:129], 0.5, v[10:11] op_sel_hi:[1,0,1] neg_lo:[1,0,0] neg_hi:[1,0,0]
	v_pk_fma_f32 v[90:91], v[92:93], s[16:17], v[90:91] op_sel_hi:[1,0,1]
	v_pk_fma_f32 v[92:93], v[114:115], s[8:9], v[88:89] op_sel:[1,0,0] op_sel_hi:[0,0,1] neg_lo:[1,0,0] neg_hi:[1,0,0]
	v_pk_fma_f32 v[88:89], v[114:115], s[8:9], v[88:89] op_sel:[1,0,0] op_sel_hi:[0,0,1]
	v_pk_add_f32 v[120:121], v[0:1], v[2:3] neg_lo:[0,1] neg_hi:[0,1]
	v_pk_add_f32 v[122:123], v[4:5], v[6:7] neg_lo:[0,1] neg_hi:[0,1]
	v_pk_fma_f32 v[92:93], v[112:113], s[0:1], v[92:93] op_sel:[1,0,0] op_sel_hi:[0,0,1]
	v_pk_fma_f32 v[88:89], v[112:113], s[0:1], v[88:89] op_sel:[1,0,0] op_sel_hi:[0,0,1] neg_lo:[1,0,0] neg_hi:[1,0,0]
	s_mov_b32 s18, 0x3f4f1bbd
	s_mov_b32 s19, s0
	v_mov_b32_e32 v112, v88
	v_mov_b32_e32 v113, v93
	v_pk_add_f32 v[114:115], v[120:121], v[122:123]
	v_mov_b32_e32 v93, v89
	v_pk_mul_f32 v[88:89], v[94:95], s[18:19] op_sel:[1,0]
	s_mov_b32 s1, s18
	v_pk_fma_f32 v[112:113], v[114:115], s[16:17], v[112:113] op_sel_hi:[1,0,1]
	v_pk_fma_f32 v[114:115], v[114:115], s[16:17], v[92:93] op_sel_hi:[1,0,1]
	v_pk_fma_f32 v[92:93], v[116:117], s[0:1], v[88:89]
	v_pk_fma_f32 v[88:89], v[116:117], s[0:1], v[88:89] op_sel_hi:[0,1,1] neg_lo:[0,0,1] neg_hi:[0,0,1]
	v_mov_b32_e32 v93, v89
	v_pk_mul_f32 v[88:89], v[112:113], s[8:9] op_sel_hi:[1,0]
	s_mov_b32 s23, 0xbf167918
	v_pk_fma_f32 v[94:95], v[112:113], s[16:17], v[88:89] op_sel:[0,0,1] op_sel_hi:[1,0,0]
	v_pk_fma_f32 v[112:113], v[112:113], s[16:17], v[88:89] op_sel:[0,0,1] op_sel_hi:[1,0,0] neg_lo:[0,0,1] neg_hi:[0,0,1]
	s_mov_b32 s22, s0
	v_mov_b32_e32 v89, v112
	v_pk_mul_f32 v[112:113], v[90:91], s[18:19] op_sel_hi:[1,0]
	v_mov_b32_e32 v88, v95
	v_pk_mul_f32 v[94:95], v[114:115], s[16:17] op_sel_hi:[1,0]
	v_pk_fma_f32 v[90:91], v[90:91], s[22:23], v[112:113] op_sel:[0,0,1] op_sel_hi:[1,1,0] neg_lo:[0,0,1] neg_hi:[0,0,1]
	v_pk_add_f32 v[112:113], v[18:19], v[92:93] neg_lo:[0,1] neg_hi:[0,1]
	s_waitcnt lgkmcnt(0)
	v_pk_add_f32 v[108:109], v[68:69], v[72:73]
	v_pk_fma_f32 v[94:95], v[114:115], s[8:9], v[94:95] op_sel:[0,0,1] op_sel_hi:[1,1,0] neg_lo:[0,0,1] neg_hi:[0,0,1]
	v_pk_add_f32 v[114:115], v[22:23], v[88:89] neg_lo:[0,1] neg_hi:[0,1]
	v_pk_add_f32 v[108:109], v[108:109], v[76:77]
	v_accvgpr_write_b32 a68, v112
	v_accvgpr_write_b32 a69, v113
	;; [unrolled: 1-line block ×4, first 2 shown]
	v_pk_add_f32 v[112:113], v[26:27], v[94:95] neg_lo:[0,1] neg_hi:[0,1]
	v_pk_add_f32 v[110:111], v[50:51], v[54:55]
	v_pk_add_f32 v[114:115], v[14:15], v[90:91] neg_lo:[0,1] neg_hi:[0,1]
	v_pk_add_f32 v[108:109], v[108:109], v[80:81]
	v_accvgpr_write_b32 a72, v112
	v_accvgpr_write_b32 a73, v113
	;; [unrolled: 1-line block ×4, first 2 shown]
	v_pk_add_f32 v[114:115], v[108:109], v[84:85]
	v_pk_add_f32 v[108:109], v[110:111], v[58:59]
	v_pk_add_f32 v[110:111], v[72:73], v[84:85] neg_lo:[0,1] neg_hi:[0,1]
	v_pk_add_f32 v[108:109], v[108:109], v[62:63]
	v_pk_mul_f32 v[112:113], v[110:111], s[8:9] op_sel_hi:[1,0]
	v_pk_add_f32 v[116:117], v[108:109], v[66:67]
	v_pk_add_f32 v[108:109], v[76:77], v[80:81]
	v_pk_add_f32 v[118:119], v[76:77], v[80:81] neg_lo:[0,1] neg_hi:[0,1]
	v_pk_fma_f32 v[108:109], v[108:109], 0.5, v[68:69] op_sel_hi:[1,0,1] neg_lo:[1,0,0] neg_hi:[1,0,0]
	v_pk_add_f32 v[122:123], v[72:73], v[76:77] neg_lo:[0,1] neg_hi:[0,1]
	v_pk_add_f32 v[124:125], v[84:85], v[80:81] neg_lo:[0,1] neg_hi:[0,1]
	v_pk_mul_f32 v[120:121], v[118:119], s[0:1] op_sel_hi:[1,0]
	v_pk_add_f32 v[122:123], v[122:123], v[124:125]
	v_pk_add_f32 v[124:125], v[108:109], v[112:113] op_sel:[0,1] op_sel_hi:[1,0]
	v_pk_add_f32 v[108:109], v[108:109], v[112:113] op_sel:[0,1] op_sel_hi:[1,0] neg_lo:[0,1] neg_hi:[0,1]
	v_pk_add_f32 v[76:77], v[76:77], v[72:73] neg_lo:[0,1] neg_hi:[0,1]
	v_pk_add_f32 v[128:129], v[108:109], v[120:121] op_sel:[0,1] op_sel_hi:[1,0] neg_lo:[0,1] neg_hi:[0,1]
	v_pk_add_f32 v[120:121], v[124:125], v[120:121] op_sel:[0,1] op_sel_hi:[1,0]
	v_pk_add_f32 v[80:81], v[80:81], v[84:85] neg_lo:[0,1] neg_hi:[0,1]
	v_pk_add_f32 v[124:125], v[58:59], v[62:63] neg_lo:[0,1] neg_hi:[0,1]
	v_pk_add_f32 v[108:109], v[54:55], v[66:67]
	v_pk_add_f32 v[76:77], v[76:77], v[80:81]
	v_pk_add_f32 v[80:81], v[54:55], v[66:67] neg_lo:[0,1] neg_hi:[0,1]
	v_pk_fma_f32 v[108:109], v[108:109], 0.5, v[50:51] op_sel_hi:[1,0,1] neg_lo:[1,0,0] neg_hi:[1,0,0]
	v_pk_mul_f32 v[112:113], v[124:125], s[8:9] op_sel_hi:[1,0]
	v_pk_add_f32 v[132:133], v[58:59], v[54:55] neg_lo:[0,1] neg_hi:[0,1]
	v_pk_add_f32 v[134:135], v[62:63], v[66:67] neg_lo:[0,1] neg_hi:[0,1]
	v_pk_mul_f32 v[130:131], v[80:81], s[0:1] op_sel_hi:[1,0]
	v_pk_add_f32 v[132:133], v[132:133], v[134:135]
	v_pk_add_f32 v[134:135], v[108:109], v[112:113] op_sel:[0,1] op_sel_hi:[1,0] neg_lo:[0,1] neg_hi:[0,1]
	v_pk_add_f32 v[108:109], v[108:109], v[112:113] op_sel:[0,1] op_sel_hi:[1,0]
	v_pk_add_f32 v[72:73], v[72:73], v[84:85]
	v_pk_add_f32 v[112:113], v[108:109], v[130:131] op_sel:[0,1] op_sel_hi:[1,0] neg_lo:[0,1] neg_hi:[0,1]
	v_pk_add_f32 v[130:131], v[134:135], v[130:131] op_sel:[0,1] op_sel_hi:[1,0]
	v_mov_b32_e32 v109, v113
	v_mov_b32_e32 v108, v130
	v_pk_fma_f32 v[108:109], v[132:133], s[16:17], v[108:109] op_sel_hi:[1,0,1]
	v_pk_fma_f32 v[68:69], v[72:73], 0.5, v[68:69] op_sel_hi:[1,0,1] neg_lo:[1,0,0] neg_hi:[1,0,0]
	v_pk_mul_f32 v[134:135], v[108:109], s[8:9] op_sel_hi:[1,0]
	v_pk_mul_f32 v[72:73], v[118:119], s[8:9] op_sel_hi:[1,0]
	v_pk_fma_f32 v[136:137], v[108:109], s[16:17], v[134:135] op_sel:[0,0,1] op_sel_hi:[1,0,0]
	v_pk_fma_f32 v[108:109], v[108:109], s[16:17], v[134:135] op_sel:[0,0,1] op_sel_hi:[1,0,0] neg_lo:[0,0,1] neg_hi:[0,0,1]
	v_mov_b32_e32 v113, v131
	v_mov_b32_e32 v137, v109
	v_pk_mul_f32 v[84:85], v[110:111], s[0:1] op_sel_hi:[1,0]
	v_pk_add_f32 v[108:109], v[68:69], v[72:73] op_sel:[0,1] op_sel_hi:[1,0] neg_lo:[0,1] neg_hi:[0,1]
	v_pk_add_f32 v[68:69], v[68:69], v[72:73] op_sel:[0,1] op_sel_hi:[1,0]
	v_pk_fma_f32 v[110:111], v[132:133], s[16:17], v[112:113] op_sel_hi:[1,0,1]
	v_pk_add_f32 v[68:69], v[68:69], v[84:85] op_sel:[0,1] op_sel_hi:[1,0] neg_lo:[0,1] neg_hi:[0,1]
	v_pk_add_f32 v[72:73], v[108:109], v[84:85] op_sel:[0,1] op_sel_hi:[1,0]
	s_mov_b32 s20, s9
	s_mov_b32 s21, s8
	v_pk_mul_f32 v[112:113], v[110:111], s[16:17] op_sel_hi:[1,0]
	v_pk_add_f32 v[54:55], v[54:55], v[58:59] neg_lo:[0,1] neg_hi:[0,1]
	v_pk_add_f32 v[58:59], v[58:59], v[62:63]
	v_pk_fma_f32 v[118:119], v[110:111], s[20:21], v[112:113] op_sel:[0,0,1] op_sel_hi:[1,1,0] neg_lo:[0,0,1] neg_hi:[0,0,1]
	v_mov_b32_e32 v111, v69
	v_mov_b32_e32 v69, v73
	v_pk_add_f32 v[66:67], v[66:67], v[62:63] neg_lo:[0,1] neg_hi:[0,1]
	v_pk_fma_f32 v[50:51], v[58:59], 0.5, v[50:51] op_sel_hi:[1,0,1] neg_lo:[1,0,0] neg_hi:[1,0,0]
	v_pk_mul_f32 v[62:63], v[80:81], s[8:9] op_sel_hi:[1,0]
	v_mov_b32_e32 v110, v72
	v_pk_fma_f32 v[72:73], v[76:77], s[16:17], v[68:69] op_sel_hi:[1,0,1]
	v_pk_add_f32 v[54:55], v[54:55], v[66:67]
	v_pk_add_f32 v[66:67], v[50:51], v[62:63] op_sel:[0,1] op_sel_hi:[1,0]
	v_pk_mul_f32 v[68:69], v[124:125], s[0:1] op_sel_hi:[1,0]
	v_pk_add_f32 v[50:51], v[50:51], v[62:63] op_sel:[0,1] op_sel_hi:[1,0] neg_lo:[0,1] neg_hi:[0,1]
	v_pk_add_f32 v[66:67], v[68:69], v[66:67] op_sel:[1,0] op_sel_hi:[0,1]
	v_pk_add_f32 v[50:51], v[50:51], v[68:69] op_sel:[0,1] op_sel_hi:[1,0] neg_lo:[0,1] neg_hi:[0,1]
	v_pk_fma_f32 v[130:131], v[76:77], s[16:17], v[110:111] op_sel_hi:[1,0,1]
	v_pk_fma_f32 v[62:63], v[54:55], s[16:17], v[50:51] op_sel_hi:[1,0,1]
	v_mov_b32_e32 v51, v67
	v_pk_fma_f32 v[50:51], v[54:55], s[16:17], v[50:51] op_sel_hi:[1,0,1]
	v_pk_fma_f32 v[76:77], v[54:55], s[16:17], v[66:67] op_sel_hi:[1,0,1]
	s_mov_b32 s22, s23
	s_mov_b32 s23, s0
	v_pk_mul_f32 v[54:55], v[50:51], s[18:19] op_sel_hi:[1,0]
	v_mov_b32_e32 v85, v129
	v_mov_b32_e32 v129, v121
	v_pk_fma_f32 v[50:51], v[50:51], s[22:23], v[54:55] op_sel:[0,0,1] op_sel_hi:[1,1,0] neg_lo:[0,0,1] neg_hi:[0,0,1]
	v_pk_mul_f32 v[54:55], v[76:77], s[18:19] op_sel_hi:[0,1]
	v_pk_fma_f32 v[58:59], v[122:123], s[16:17], v[128:129] op_sel_hi:[1,0,1]
	v_pk_fma_f32 v[76:77], v[62:63], s[0:1], v[54:55] op_sel:[1,0,0]
	v_pk_fma_f32 v[54:55], v[62:63], s[0:1], v[54:55] op_sel:[1,0,0] neg_lo:[0,0,1] neg_hi:[0,0,1]
	v_mul_lo_u16_e32 v97, 10, v138
	v_mov_b32_e32 v84, v120
	v_mov_b32_e32 v77, v55
	v_pk_add_f32 v[54:55], v[58:59], v[50:51] op_sel:[1,0] op_sel_hi:[0,1]
	v_lshlrev_b32_e32 v218, 3, v97
	v_pk_fma_f32 v[84:85], v[122:123], s[16:17], v[84:85] op_sel_hi:[1,0,1]
	v_pk_add_f32 v[68:69], v[114:115], v[116:117] neg_lo:[0,1] neg_hi:[0,1]
	v_mov_b32_e32 v66, v55
	v_mov_b32_e32 v67, v54
	s_waitcnt lgkmcnt(0)
	; wave barrier
	ds_write_b128 v218, v[66:69] offset:32
	v_pk_add_f32 v[66:67], v[84:85], v[76:77] neg_lo:[0,1] neg_hi:[0,1]
	v_pk_add_f32 v[68:69], v[130:131], v[136:137] neg_lo:[0,1] neg_hi:[0,1]
	v_pk_add_f32 v[50:51], v[58:59], v[50:51] op_sel:[1,0] op_sel_hi:[0,1] neg_lo:[0,1] neg_hi:[0,1]
	v_pk_add_f32 v[104:105], v[28:29], v[32:33]
	v_pk_add_f32 v[110:111], v[130:131], v[136:137]
	v_pk_add_f32 v[112:113], v[72:73], v[118:119] op_sel:[0,1] op_sel_hi:[1,0]
	ds_write_b128 v218, v[66:69] offset:48
	v_pk_add_f32 v[66:67], v[72:73], v[118:119] op_sel:[0,1] op_sel_hi:[1,0] neg_lo:[0,1] neg_hi:[0,1]
	v_mov_b32_e32 v68, v51
	v_mov_b32_e32 v69, v50
	v_pk_add_f32 v[58:59], v[78:79], v[82:83]
	v_pk_add_f32 v[62:63], v[74:75], v[86:87] neg_lo:[0,1] neg_hi:[0,1]
	ds_write_b128 v218, v[110:113] offset:16
	v_pk_add_f32 v[110:111], v[84:85], v[76:77]
	ds_write_b128 v218, v[66:69] offset:64
	v_pk_add_f32 v[54:55], v[104:105], v[36:37]
	v_pk_fma_f32 v[58:59], v[58:59], 0.5, v[70:71] op_sel_hi:[1,0,1] neg_lo:[1,0,0] neg_hi:[1,0,0]
	v_pk_mul_f32 v[68:69], v[62:63], s[8:9] op_sel_hi:[1,0]
	v_pk_add_f32 v[76:77], v[78:79], v[82:83] neg_lo:[0,1] neg_hi:[0,1]
	v_pk_add_f32 v[84:85], v[74:75], v[78:79] neg_lo:[0,1] neg_hi:[0,1]
	;; [unrolled: 1-line block ×3, first 2 shown]
	v_pk_mul_f32 v[80:81], v[76:77], s[0:1] op_sel_hi:[1,0]
	v_pk_add_f32 v[84:85], v[84:85], v[104:105]
	v_pk_add_f32 v[104:105], v[58:59], v[68:69] op_sel:[0,1] op_sel_hi:[1,0]
	v_pk_add_f32 v[58:59], v[58:59], v[68:69] op_sel:[0,1] op_sel_hi:[1,0] neg_lo:[0,1] neg_hi:[0,1]
	v_lshl_add_u64 v[126:127], v[138:139], 0, 60
	v_pk_add_f32 v[58:59], v[58:59], v[80:81] op_sel:[0,1] op_sel_hi:[1,0] neg_lo:[0,1] neg_hi:[0,1]
	v_pk_add_f32 v[80:81], v[104:105], v[80:81] op_sel:[0,1] op_sel_hi:[1,0]
	v_pk_add_f32 v[106:107], v[70:71], v[74:75]
	v_mul_u32_u24_e32 v50, 10, v126
	v_mov_b32_e32 v68, v80
	v_mov_b32_e32 v69, v59
	v_lshlrev_b32_e32 v72, 3, v50
	v_pk_add_f32 v[50:51], v[106:107], v[78:79]
	v_pk_fma_f32 v[104:105], v[84:85], s[16:17], v[68:69] op_sel_hi:[1,0,1]
	v_pk_add_f32 v[68:69], v[74:75], v[86:87]
	v_pk_add_f32 v[108:109], v[114:115], v[116:117]
	;; [unrolled: 1-line block ×3, first 2 shown]
	v_pk_fma_f32 v[68:69], v[68:69], 0.5, v[70:71] op_sel_hi:[1,0,1] neg_lo:[1,0,0] neg_hi:[1,0,0]
	v_pk_add_f32 v[70:71], v[78:79], v[74:75] neg_lo:[0,1] neg_hi:[0,1]
	v_pk_add_f32 v[74:75], v[82:83], v[86:87] neg_lo:[0,1] neg_hi:[0,1]
	;; [unrolled: 1-line block ×3, first 2 shown]
	v_pk_add_f32 v[82:83], v[32:33], v[44:45]
	ds_write_b128 v218, v[108:111]
	v_pk_add_f32 v[50:51], v[50:51], v[86:87]
	v_pk_add_f32 v[70:71], v[70:71], v[74:75]
	v_pk_add_f32 v[74:75], v[32:33], v[44:45] neg_lo:[0,1] neg_hi:[0,1]
	v_pk_fma_f32 v[82:83], v[82:83], 0.5, v[28:29] op_sel_hi:[1,0,1] neg_lo:[1,0,0] neg_hi:[1,0,0]
	v_pk_mul_f32 v[86:87], v[78:79], s[8:9] op_sel_hi:[1,0]
	v_pk_add_f32 v[108:109], v[36:37], v[32:33] neg_lo:[0,1] neg_hi:[0,1]
	v_pk_add_f32 v[110:111], v[40:41], v[44:45] neg_lo:[0,1] neg_hi:[0,1]
	v_pk_mul_f32 v[106:107], v[74:75], s[0:1] op_sel_hi:[1,0]
	v_pk_add_f32 v[108:109], v[108:109], v[110:111]
	v_pk_add_f32 v[110:111], v[82:83], v[86:87] op_sel:[0,1] op_sel_hi:[1,0] neg_lo:[0,1] neg_hi:[0,1]
	v_pk_add_f32 v[82:83], v[82:83], v[86:87] op_sel:[0,1] op_sel_hi:[1,0]
	v_pk_add_f32 v[86:87], v[110:111], v[106:107] op_sel:[0,1] op_sel_hi:[1,0]
	v_pk_add_f32 v[82:83], v[82:83], v[106:107] op_sel:[0,1] op_sel_hi:[1,0] neg_lo:[0,1] neg_hi:[0,1]
	v_mov_b32_e32 v106, v86
	v_mov_b32_e32 v107, v83
	v_pk_fma_f32 v[106:107], v[108:109], s[16:17], v[106:107] op_sel_hi:[1,0,1]
	v_pk_mul_f32 v[76:77], v[76:77], s[8:9] op_sel_hi:[1,0]
	v_pk_mul_f32 v[110:111], v[106:107], s[8:9] op_sel_hi:[1,0]
	;; [unrolled: 1-line block ×3, first 2 shown]
	v_pk_fma_f32 v[112:113], v[106:107], s[16:17], v[110:111] op_sel:[0,0,1] op_sel_hi:[1,0,0]
	v_pk_fma_f32 v[106:107], v[106:107], s[16:17], v[110:111] op_sel:[0,0,1] op_sel_hi:[1,0,0] neg_lo:[0,0,1] neg_hi:[0,0,1]
	v_mov_b32_e32 v83, v87
	v_mov_b32_e32 v113, v107
	v_pk_add_f32 v[106:107], v[68:69], v[76:77] op_sel:[0,1] op_sel_hi:[1,0] neg_lo:[0,1] neg_hi:[0,1]
	v_pk_add_f32 v[68:69], v[68:69], v[76:77] op_sel:[0,1] op_sel_hi:[1,0]
	v_pk_fma_f32 v[82:83], v[108:109], s[16:17], v[82:83] op_sel_hi:[1,0,1]
	v_pk_add_f32 v[76:77], v[68:69], v[62:63] op_sel:[0,1] op_sel_hi:[1,0] neg_lo:[0,1] neg_hi:[0,1]
	v_pk_add_f32 v[62:63], v[106:107], v[62:63] op_sel:[0,1] op_sel_hi:[1,0]
	v_mov_b32_e32 v69, v77
	v_mov_b32_e32 v68, v62
	v_pk_mul_f32 v[86:87], v[82:83], s[16:17] op_sel_hi:[1,0]
	v_mov_b32_e32 v77, v63
	v_pk_fma_f32 v[106:107], v[70:71], s[16:17], v[68:69] op_sel_hi:[1,0,1]
	v_pk_fma_f32 v[82:83], v[82:83], s[20:21], v[86:87] op_sel:[0,0,1] op_sel_hi:[1,1,0] neg_lo:[0,0,1] neg_hi:[0,0,1]
	v_pk_fma_f32 v[62:63], v[70:71], s[16:17], v[76:77] op_sel_hi:[1,0,1]
	v_pk_add_f32 v[68:69], v[106:107], v[112:113]
	v_pk_add_f32 v[70:71], v[62:63], v[82:83] op_sel:[0,1] op_sel_hi:[1,0]
	ds_write_b128 v72, v[68:71] offset:16
	v_pk_add_f32 v[68:69], v[36:37], v[40:41]
	v_pk_add_f32 v[54:55], v[54:55], v[40:41]
	v_pk_fma_f32 v[28:29], v[68:69], 0.5, v[28:29] op_sel_hi:[1,0,1] neg_lo:[1,0,0] neg_hi:[1,0,0]
	v_pk_add_f32 v[32:33], v[32:33], v[36:37] neg_lo:[0,1] neg_hi:[0,1]
	v_pk_add_f32 v[36:37], v[44:45], v[40:41] neg_lo:[0,1] neg_hi:[0,1]
	v_mov_b32_e32 v59, v81
	v_pk_mul_f32 v[40:41], v[74:75], s[8:9] op_sel_hi:[1,0]
	v_pk_add_f32 v[54:55], v[54:55], v[44:45]
	v_pk_add_f32 v[32:33], v[32:33], v[36:37]
	v_pk_fma_f32 v[36:37], v[84:85], s[16:17], v[58:59] op_sel_hi:[1,0,1]
	v_pk_add_f32 v[44:45], v[28:29], v[40:41] op_sel:[0,1] op_sel_hi:[1,0]
	v_pk_mul_f32 v[58:59], v[78:79], s[0:1] op_sel_hi:[1,0]
	v_pk_add_f32 v[28:29], v[28:29], v[40:41] op_sel:[0,1] op_sel_hi:[1,0] neg_lo:[0,1] neg_hi:[0,1]
	v_pk_add_f32 v[44:45], v[58:59], v[44:45] op_sel:[1,0] op_sel_hi:[0,1]
	v_pk_add_f32 v[28:29], v[28:29], v[58:59] op_sel:[0,1] op_sel_hi:[1,0] neg_lo:[0,1] neg_hi:[0,1]
	v_pk_fma_f32 v[68:69], v[32:33], s[16:17], v[44:45] op_sel_hi:[1,0,1]
	v_pk_fma_f32 v[40:41], v[32:33], s[16:17], v[28:29] op_sel_hi:[1,0,1]
	v_mov_b32_e32 v29, v45
	v_pk_fma_f32 v[28:29], v[32:33], s[16:17], v[28:29] op_sel_hi:[1,0,1]
	v_pk_add_f32 v[66:67], v[50:51], v[54:55]
	v_pk_mul_f32 v[32:33], v[28:29], s[18:19] op_sel_hi:[1,0]
	v_pk_add_f32 v[102:103], v[48:49], v[52:53]
	v_pk_fma_f32 v[28:29], v[28:29], s[22:23], v[32:33] op_sel:[0,0,1] op_sel_hi:[1,1,0] neg_lo:[0,0,1] neg_hi:[0,0,1]
	v_pk_mul_f32 v[32:33], v[68:69], s[18:19] op_sel_hi:[0,1]
	v_pk_fma_f32 v[44:45], v[40:41], s[0:1], v[32:33] op_sel:[1,0,0]
	v_pk_fma_f32 v[32:33], v[40:41], s[0:1], v[32:33] op_sel:[1,0,0] neg_lo:[0,0,1] neg_hi:[0,0,1]
	v_pk_add_f32 v[40:41], v[56:57], v[60:61]
	v_mov_b32_e32 v45, v33
	v_pk_add_f32 v[68:69], v[104:105], v[44:45]
	v_pk_add_f32 v[32:33], v[36:37], v[28:29] op_sel:[1,0] op_sel_hi:[0,1]
	ds_write_b128 v72, v[66:69]
	v_pk_add_f32 v[68:69], v[50:51], v[54:55] neg_lo:[0,1] neg_hi:[0,1]
	v_mov_b32_e32 v66, v33
	v_mov_b32_e32 v67, v32
	ds_write_b128 v72, v[66:69] offset:32
	v_pk_add_f32 v[66:67], v[104:105], v[44:45] neg_lo:[0,1] neg_hi:[0,1]
	v_pk_add_f32 v[68:69], v[106:107], v[112:113] neg_lo:[0,1] neg_hi:[0,1]
	v_pk_add_f32 v[28:29], v[36:37], v[28:29] op_sel:[1,0] op_sel_hi:[0,1] neg_lo:[0,1] neg_hi:[0,1]
	ds_write_b128 v72, v[66:69] offset:48
	v_pk_add_f32 v[66:67], v[62:63], v[82:83] op_sel:[0,1] op_sel_hi:[1,0] neg_lo:[0,1] neg_hi:[0,1]
	v_mov_b32_e32 v68, v29
	v_mov_b32_e32 v69, v28
	v_pk_add_f32 v[44:45], v[52:53], v[64:65] neg_lo:[0,1] neg_hi:[0,1]
	ds_write_b128 v72, v[66:69] offset:64
	v_pk_fma_f32 v[40:41], v[40:41], 0.5, v[48:49] op_sel_hi:[1,0,1] neg_lo:[1,0,0] neg_hi:[1,0,0]
	v_pk_mul_f32 v[50:51], v[44:45], s[8:9] op_sel_hi:[1,0]
	v_pk_add_f32 v[54:55], v[56:57], v[60:61] neg_lo:[0,1] neg_hi:[0,1]
	v_pk_add_f32 v[62:63], v[52:53], v[56:57] neg_lo:[0,1] neg_hi:[0,1]
	;; [unrolled: 1-line block ×3, first 2 shown]
	v_pk_mul_f32 v[58:59], v[54:55], s[0:1] op_sel_hi:[1,0]
	v_pk_add_f32 v[62:63], v[62:63], v[66:67]
	v_pk_add_f32 v[66:67], v[40:41], v[50:51] op_sel:[0,1] op_sel_hi:[1,0]
	v_pk_add_f32 v[40:41], v[40:41], v[50:51] op_sel:[0,1] op_sel_hi:[1,0] neg_lo:[0,1] neg_hi:[0,1]
	v_mul_u32_u24_e32 v28, 10, v98
	v_pk_add_f32 v[40:41], v[40:41], v[58:59] op_sel:[0,1] op_sel_hi:[1,0] neg_lo:[0,1] neg_hi:[0,1]
	v_pk_add_f32 v[58:59], v[66:67], v[58:59] op_sel:[0,1] op_sel_hi:[1,0]
	v_mov_b32_e32 v51, v41
	v_mov_b32_e32 v50, v58
	v_lshlrev_b32_e32 v69, 3, v28
	v_pk_add_f32 v[28:29], v[102:103], v[56:57]
	v_pk_fma_f32 v[66:67], v[62:63], s[16:17], v[50:51] op_sel_hi:[1,0,1]
	v_pk_add_f32 v[50:51], v[52:53], v[64:65]
	v_pk_add_f32 v[28:29], v[28:29], v[60:61]
	v_pk_fma_f32 v[48:49], v[50:51], 0.5, v[48:49] op_sel_hi:[1,0,1] neg_lo:[1,0,0] neg_hi:[1,0,0]
	v_pk_add_f32 v[50:51], v[56:57], v[52:53] neg_lo:[0,1] neg_hi:[0,1]
	v_pk_add_f32 v[52:53], v[60:61], v[64:65] neg_lo:[0,1] neg_hi:[0,1]
	;; [unrolled: 1-line block ×3, first 2 shown]
	v_pk_add_f32 v[60:61], v[34:35], v[46:47]
	v_pk_add_f32 v[32:33], v[28:29], v[64:65]
	;; [unrolled: 1-line block ×3, first 2 shown]
	v_pk_add_f32 v[52:53], v[34:35], v[46:47] neg_lo:[0,1] neg_hi:[0,1]
	v_pk_fma_f32 v[60:61], v[60:61], 0.5, v[30:31] op_sel_hi:[1,0,1] neg_lo:[1,0,0] neg_hi:[1,0,0]
	v_pk_mul_f32 v[64:65], v[56:57], s[8:9] op_sel_hi:[1,0]
	v_pk_add_f32 v[74:75], v[38:39], v[34:35] neg_lo:[0,1] neg_hi:[0,1]
	v_pk_add_f32 v[76:77], v[42:43], v[46:47] neg_lo:[0,1] neg_hi:[0,1]
	v_pk_mul_f32 v[70:71], v[52:53], s[0:1] op_sel_hi:[1,0]
	v_pk_add_f32 v[74:75], v[74:75], v[76:77]
	v_pk_add_f32 v[76:77], v[60:61], v[64:65] op_sel:[0,1] op_sel_hi:[1,0] neg_lo:[0,1] neg_hi:[0,1]
	v_pk_add_f32 v[60:61], v[60:61], v[64:65] op_sel:[0,1] op_sel_hi:[1,0]
	v_pk_add_f32 v[64:65], v[76:77], v[70:71] op_sel:[0,1] op_sel_hi:[1,0]
	v_pk_add_f32 v[60:61], v[60:61], v[70:71] op_sel:[0,1] op_sel_hi:[1,0] neg_lo:[0,1] neg_hi:[0,1]
	v_mov_b32_e32 v70, v64
	v_mov_b32_e32 v71, v61
	v_pk_fma_f32 v[70:71], v[74:75], s[16:17], v[70:71] op_sel_hi:[1,0,1]
	v_pk_mul_f32 v[54:55], v[54:55], s[8:9] op_sel_hi:[1,0]
	v_pk_mul_f32 v[76:77], v[70:71], s[8:9] op_sel_hi:[1,0]
	v_pk_mul_f32 v[44:45], v[44:45], s[0:1] op_sel_hi:[1,0]
	v_pk_fma_f32 v[78:79], v[70:71], s[16:17], v[76:77] op_sel:[0,0,1] op_sel_hi:[1,0,0]
	v_pk_fma_f32 v[70:71], v[70:71], s[16:17], v[76:77] op_sel:[0,0,1] op_sel_hi:[1,0,0] neg_lo:[0,0,1] neg_hi:[0,0,1]
	v_mov_b32_e32 v61, v65
	v_mov_b32_e32 v79, v71
	v_pk_add_f32 v[70:71], v[48:49], v[54:55] op_sel:[0,1] op_sel_hi:[1,0] neg_lo:[0,1] neg_hi:[0,1]
	v_pk_add_f32 v[48:49], v[48:49], v[54:55] op_sel:[0,1] op_sel_hi:[1,0]
	v_pk_fma_f32 v[60:61], v[74:75], s[16:17], v[60:61] op_sel_hi:[1,0,1]
	v_pk_add_f32 v[54:55], v[48:49], v[44:45] op_sel:[0,1] op_sel_hi:[1,0] neg_lo:[0,1] neg_hi:[0,1]
	v_pk_add_f32 v[44:45], v[70:71], v[44:45] op_sel:[0,1] op_sel_hi:[1,0]
	v_mov_b32_e32 v49, v55
	v_mov_b32_e32 v48, v44
	v_pk_mul_f32 v[64:65], v[60:61], s[16:17] op_sel_hi:[1,0]
	v_mov_b32_e32 v55, v45
	v_pk_fma_f32 v[70:71], v[50:51], s[16:17], v[48:49] op_sel_hi:[1,0,1]
	v_pk_fma_f32 v[60:61], v[60:61], s[20:21], v[64:65] op_sel:[0,0,1] op_sel_hi:[1,1,0] neg_lo:[0,0,1] neg_hi:[0,0,1]
	v_pk_fma_f32 v[44:45], v[50:51], s[16:17], v[54:55] op_sel_hi:[1,0,1]
	v_pk_add_f32 v[100:101], v[30:31], v[34:35]
	v_pk_add_f32 v[48:49], v[70:71], v[78:79]
	v_pk_add_f32 v[50:51], v[44:45], v[60:61] op_sel:[0,1] op_sel_hi:[1,0]
	v_pk_add_f32 v[28:29], v[100:101], v[38:39]
	ds_write_b128 v69, v[48:51] offset:16
	v_pk_add_f32 v[48:49], v[38:39], v[42:43]
	v_pk_add_f32 v[34:35], v[34:35], v[38:39] neg_lo:[0,1] neg_hi:[0,1]
	v_pk_add_f32 v[38:39], v[46:47], v[42:43] neg_lo:[0,1] neg_hi:[0,1]
	v_mov_b32_e32 v41, v59
	v_pk_add_f32 v[28:29], v[28:29], v[42:43]
	v_pk_fma_f32 v[30:31], v[48:49], 0.5, v[30:31] op_sel_hi:[1,0,1] neg_lo:[1,0,0] neg_hi:[1,0,0]
	v_pk_add_f32 v[34:35], v[34:35], v[38:39]
	v_pk_fma_f32 v[38:39], v[62:63], s[16:17], v[40:41] op_sel_hi:[1,0,1]
	v_pk_mul_f32 v[40:41], v[52:53], s[8:9] op_sel_hi:[1,0]
	v_pk_add_f32 v[36:37], v[28:29], v[46:47]
	v_pk_add_f32 v[42:43], v[30:31], v[40:41] op_sel:[0,1] op_sel_hi:[1,0]
	v_pk_mul_f32 v[46:47], v[56:57], s[0:1] op_sel_hi:[1,0]
	v_pk_add_f32 v[30:31], v[30:31], v[40:41] op_sel:[0,1] op_sel_hi:[1,0] neg_lo:[0,1] neg_hi:[0,1]
	v_pk_add_f32 v[42:43], v[46:47], v[42:43] op_sel:[1,0] op_sel_hi:[0,1]
	v_pk_add_f32 v[30:31], v[30:31], v[46:47] op_sel:[0,1] op_sel_hi:[1,0] neg_lo:[0,1] neg_hi:[0,1]
	v_pk_fma_f32 v[48:49], v[34:35], s[16:17], v[42:43] op_sel_hi:[1,0,1]
	v_pk_fma_f32 v[40:41], v[34:35], s[16:17], v[30:31] op_sel_hi:[1,0,1]
	v_mov_b32_e32 v31, v43
	v_pk_fma_f32 v[30:31], v[34:35], s[16:17], v[30:31] op_sel_hi:[1,0,1]
	v_pk_add_f32 v[28:29], v[32:33], v[36:37]
	v_pk_mul_f32 v[34:35], v[30:31], s[18:19] op_sel_hi:[1,0]
	v_mul_u32_u24_e32 v68, 10, v96
	v_pk_fma_f32 v[34:35], v[30:31], s[22:23], v[34:35] op_sel:[0,0,1] op_sel_hi:[1,1,0] neg_lo:[0,0,1] neg_hi:[0,0,1]
	v_pk_mul_f32 v[30:31], v[48:49], s[18:19] op_sel_hi:[0,1]
	v_pk_fma_f32 v[42:43], v[40:41], s[0:1], v[30:31] op_sel:[1,0,0]
	v_pk_fma_f32 v[30:31], v[40:41], s[0:1], v[30:31] op_sel:[1,0,0] neg_lo:[0,0,1] neg_hi:[0,0,1]
	v_pk_add_f32 v[40:41], v[38:39], v[34:35] op_sel:[1,0] op_sel_hi:[0,1]
	v_mov_b32_e32 v43, v31
	v_pk_add_f32 v[30:31], v[66:67], v[42:43]
	ds_write_b128 v69, v[28:31]
	v_pk_add_f32 v[30:31], v[32:33], v[36:37] neg_lo:[0,1] neg_hi:[0,1]
	v_mov_b32_e32 v28, v41
	v_mov_b32_e32 v29, v40
	ds_write_b128 v69, v[28:31] offset:32
	v_pk_add_f32 v[28:29], v[66:67], v[42:43] neg_lo:[0,1] neg_hi:[0,1]
	v_pk_add_f32 v[30:31], v[70:71], v[78:79] neg_lo:[0,1] neg_hi:[0,1]
	v_pk_add_f32 v[32:33], v[38:39], v[34:35] op_sel:[1,0] op_sel_hi:[0,1] neg_lo:[0,1] neg_hi:[0,1]
	ds_write_b128 v69, v[28:31] offset:48
	v_pk_add_f32 v[28:29], v[44:45], v[60:61] op_sel:[0,1] op_sel_hi:[1,0] neg_lo:[0,1] neg_hi:[0,1]
	v_mov_b32_e32 v30, v33
	v_mov_b32_e32 v31, v32
	ds_write_b128 v69, v[28:31] offset:64
	s_and_saveexec_b64 s[0:1], s[2:3]
	s_cbranch_execz .LBB0_7
; %bb.6:
	v_pk_add_f32 v[8:9], v[12:13], v[8:9]
	v_pk_add_f32 v[2:3], v[10:11], v[2:3]
	;; [unrolled: 1-line block ×8, first 2 shown]
	v_lshlrev_b32_e32 v28, 3, v68
	v_pk_add_f32 v[0:1], v[8:9], v[4:5] op_sel:[0,1] op_sel_hi:[1,0]
	v_pk_add_f32 v[2:3], v[18:19], v[92:93]
	ds_write_b128 v28, v[0:3]
	v_pk_add_f32 v[0:1], v[22:23], v[88:89]
	v_pk_add_f32 v[2:3], v[26:27], v[94:95]
	ds_write_b128 v28, v[0:3] offset:16
	v_pk_add_f32 v[0:1], v[14:15], v[90:91]
	v_pk_add_f32 v[2:3], v[8:9], v[4:5] op_sel:[0,1] op_sel_hi:[1,0] neg_lo:[0,1] neg_hi:[0,1]
	ds_write_b128 v28, v[0:3] offset:32
	ds_write_b128 v28, a[68:71] offset:48
	;; [unrolled: 1-line block ×3, first 2 shown]
.LBB0_7:
	s_or_b64 exec, exec, s[0:1]
	s_add_u32 s0, s12, 0x4380
	s_movk_i32 s12, 0xcd
	v_mul_lo_u16_sdwa v0, v138, s12 dst_sel:DWORD dst_unused:UNUSED_PAD src0_sel:BYTE_0 src1_sel:DWORD
	v_lshrrev_b16_e32 v2, 11, v0
	v_mul_lo_u16_e32 v0, 10, v2
	v_sub_u16_e32 v0, v138, v0
	v_and_b32_e32 v3, 0xff, v0
	v_mad_u64_u32 v[0:1], s[8:9], v3, 40, s[14:15]
	s_waitcnt lgkmcnt(0)
	; wave barrier
	s_waitcnt lgkmcnt(0)
	global_load_dwordx2 v[80:81], v[0:1], off offset:32
	global_load_dwordx4 v[92:95], v[0:1], off offset:16
	global_load_dwordx4 v[228:231], v[0:1], off
	v_mul_lo_u16_sdwa v0, v126, s12 dst_sel:DWORD dst_unused:UNUSED_PAD src0_sel:BYTE_0 src1_sel:DWORD
	v_lshrrev_b16_e32 v4, 11, v0
	v_mul_lo_u16_e32 v0, 10, v4
	v_sub_u16_e32 v0, v126, v0
	v_and_b32_e32 v5, 0xff, v0
	v_mad_u64_u32 v[0:1], s[8:9], v5, 40, s[14:15]
	global_load_dwordx2 v[82:83], v[0:1], off offset:32
	global_load_dwordx4 v[224:227], v[0:1], off offset:16
	global_load_dwordx4 v[232:235], v[0:1], off
	v_mul_lo_u16_sdwa v0, v98, s12 dst_sel:DWORD dst_unused:UNUSED_PAD src0_sel:BYTE_0 src1_sel:DWORD
	v_lshrrev_b16_e32 v6, 11, v0
	v_mul_lo_u16_e32 v0, 10, v6
	v_sub_u16_e32 v0, v98, v0
	v_and_b32_e32 v7, 0xff, v0
	v_mad_u64_u32 v[0:1], s[8:9], v7, 40, s[14:15]
	;; [unrolled: 9-line block ×3, first 2 shown]
	v_add_u32_e32 v65, 0xf0, v138
	s_mov_b32 s8, 0xcccd
	global_load_dwordx2 v[52:53], v[0:1], off offset:32
	global_load_dwordx4 v[246:249], v[0:1], off offset:16
	global_load_dwordx4 v[54:57], v[0:1], off
	v_mul_u32_u24_sdwa v0, v65, s8 dst_sel:DWORD dst_unused:UNUSED_PAD src0_sel:WORD_0 src1_sel:DWORD
	v_lshrrev_b32_e32 v10, 19, v0
	v_mul_lo_u16_e32 v0, 10, v10
	v_sub_u16_e32 v11, v65, v0
	v_mul_lo_u16_e32 v212, 40, v11
	v_mov_b32_e32 v213, 0
	v_add_u32_e32 v64, 0x12c, v138
	v_lshl_add_u64 v[0:1], s[14:15], 0, v[212:213]
	global_load_dwordx2 v[48:49], v[0:1], off offset:32
	global_load_dwordx4 v[58:61], v[0:1], off offset:16
	global_load_dwordx4 v[84:87], v[0:1], off
	v_mul_u32_u24_sdwa v0, v64, s8 dst_sel:DWORD dst_unused:UNUSED_PAD src0_sel:WORD_0 src1_sel:DWORD
	v_lshrrev_b32_e32 v12, 19, v0
	v_mul_lo_u16_e32 v0, 10, v12
	v_sub_u16_e32 v13, v64, v0
	v_mul_lo_u16_e32 v212, 40, v13
	v_lshl_add_u64 v[0:1], s[14:15], 0, v[212:213]
	global_load_dwordx2 v[14:15], v[0:1], off offset:32
	global_load_dwordx4 v[16:19], v[0:1], off offset:16
	global_load_dwordx4 v[88:91], v[0:1], off
	v_mul_u32_u24_e32 v0, 60, v2
	v_add_u32_e32 v78, 0x1000, v216
	v_add_lshl_u32 v149, v0, v3, 3
	v_mul_u32_u24_e32 v0, 60, v4
	ds_read2_b64 v[22:25], v78 offset0:88 offset1:148
	v_add_lshl_u32 v148, v0, v5, 3
	v_mul_u32_u24_e32 v0, 60, v6
	v_add_lshl_u32 v127, v0, v7, 3
	v_mul_u32_u24_e32 v0, 60, v8
	v_add_u32_e32 v79, 0x1800, v216
	v_add_lshl_u32 v99, v0, v9, 3
	v_mad_legacy_u16 v0, v10, 60, v11
	ds_read2_b64 v[26:29], v79 offset0:192 offset1:252
	v_lshlrev_b32_e32 v97, 3, v0
	v_mad_legacy_u16 v0, v12, 60, v13
	v_add_u32_e32 v73, 0x2800, v216
	v_lshlrev_b32_e32 v77, 3, v0
	ds_read2_b64 v[36:39], v73 offset0:40 offset1:100
	v_add_u32_e32 v71, 0x3000, v216
	ds_read2_b64 v[40:43], v71 offset0:144 offset1:204
	v_add_u32_e32 v70, 0x3c00, v216
	;; [unrolled: 2-line block ×3, first 2 shown]
	ds_read2_b64 v[32:35], v222 offset0:112 offset1:172
	s_mov_b32 s8, 0x3f5db3d7
	s_mov_b32 s9, 0xbf5db3d7
	v_add_u32_e32 v221, 0xc00, v216
	v_add_u32_e32 v220, 0x800, v216
	;; [unrolled: 1-line block ×3, first 2 shown]
	v_mov_b32_e32 v76, v138
	s_addc_u32 s1, s13, 0
	s_movk_i32 s13, 0x89
	v_accvgpr_write_b32 a87, v99
	v_accvgpr_write_b32 a67, v97
	s_mov_b32 s12, 0.5
	v_accvgpr_write_b32 a23, v77
	v_accvgpr_write_b32 a137, v149
	;; [unrolled: 1-line block ×3, first 2 shown]
	s_movk_i32 s19, 0x1000
	s_movk_i32 s20, 0x2000
	v_accvgpr_write_b32 a108, v127
	s_movk_i32 s18, 0x3000
	v_accvgpr_write_b32 a22, v76
	s_waitcnt vmcnt(11)
	v_mov_b64_e32 v[238:239], v[74:75]
	s_waitcnt vmcnt(8)
	v_mov_b64_e32 v[244:245], v[52:53]
	s_waitcnt vmcnt(6)
	v_accvgpr_write_b32 a79, v57
	v_accvgpr_write_b32 a78, v56
	;; [unrolled: 1-line block ×4, first 2 shown]
	s_waitcnt vmcnt(5) lgkmcnt(1)
	v_pk_mul_f32 v[30:31], v[44:45], v[48:49] op_sel_hi:[1,0]
	v_accvgpr_write_b32 a81, v49
	s_waitcnt vmcnt(3)
	v_accvgpr_write_b32 a99, v87
	v_accvgpr_write_b32 a98, v86
	;; [unrolled: 1-line block ×5, first 2 shown]
	s_waitcnt vmcnt(2)
	v_pk_mul_f32 v[10:11], v[46:47], v[14:15] op_sel_hi:[1,0]
	s_waitcnt vmcnt(1)
	v_pk_mul_f32 v[6:7], v[38:39], v[16:17] op_sel_hi:[1,0]
	;; [unrolled: 2-line block ×3, first 2 shown]
	v_mov_b32_e32 v0, v89
	v_pk_fma_f32 v[0:1], v[24:25], v[0:1], v[2:3] op_sel:[0,0,1] op_sel_hi:[1,1,0]
	v_pk_fma_f32 v[2:3], v[24:25], v[88:89], v[2:3] op_sel:[0,1,1] op_sel_hi:[1,1,0] neg_lo:[1,0,0] neg_hi:[1,0,0]
	v_accvgpr_write_b32 a107, v19
	v_mov_b32_e32 v2, v91
	v_pk_mul_f32 v[4:5], v[28:29], v[2:3] op_sel_hi:[1,0]
	v_mov_b32_e32 v1, v3
	v_pk_fma_f32 v[2:3], v[28:29], v[90:91], v[4:5] op_sel:[0,0,1] op_sel_hi:[1,1,0] neg_lo:[0,0,1] neg_hi:[0,0,1]
	v_pk_fma_f32 v[4:5], v[28:29], v[90:91], v[4:5] op_sel:[0,0,1] op_sel_hi:[1,0,0]
	v_accvgpr_write_b32 a83, v15
	v_mov_b32_e32 v4, v17
	v_mov_b32_e32 v3, v5
	v_pk_fma_f32 v[4:5], v[38:39], v[4:5], v[6:7] op_sel:[0,0,1] op_sel_hi:[1,1,0]
	v_pk_fma_f32 v[6:7], v[38:39], v[16:17], v[6:7] op_sel:[0,1,1] op_sel_hi:[1,1,0] neg_lo:[1,0,0] neg_hi:[1,0,0]
	v_accvgpr_write_b32 a106, v18
	v_mov_b32_e32 v6, v19
	v_pk_mul_f32 v[8:9], v[42:43], v[6:7] op_sel_hi:[1,0]
	v_mov_b32_e32 v5, v7
	v_pk_fma_f32 v[6:7], v[42:43], v[18:19], v[8:9] op_sel:[0,0,1] op_sel_hi:[1,1,0] neg_lo:[0,0,1] neg_hi:[0,0,1]
	v_pk_fma_f32 v[8:9], v[42:43], v[18:19], v[8:9] op_sel:[0,0,1] op_sel_hi:[1,0,0]
	v_accvgpr_write_b32 a105, v17
	v_mov_b32_e32 v8, v15
	v_mov_b32_e32 v7, v9
	v_pk_fma_f32 v[8:9], v[46:47], v[8:9], v[10:11] op_sel:[0,0,1] op_sel_hi:[1,1,0]
	v_pk_fma_f32 v[10:11], v[46:47], v[14:15], v[10:11] op_sel:[0,1,1] op_sel_hi:[1,1,0] neg_lo:[1,0,0] neg_hi:[1,0,0]
	v_pk_add_f32 v[12:13], v[2:3], v[6:7] neg_lo:[0,1] neg_hi:[0,1]
	v_mov_b32_e32 v9, v11
	v_pk_add_f32 v[10:11], v[2:3], v[6:7]
	v_pk_mul_f32 v[12:13], v[12:13], s[8:9] op_sel_hi:[1,0]
	s_waitcnt lgkmcnt(0)
	v_pk_fma_f32 v[10:11], v[10:11], 0.5, v[34:35] op_sel_hi:[1,0,1] neg_lo:[1,0,0] neg_hi:[1,0,0]
	v_accvgpr_write_b32 a104, v16
	v_accvgpr_write_b32 a82, v14
	v_pk_add_f32 v[14:15], v[12:13], v[10:11] op_sel:[1,0] op_sel_hi:[0,1]
	v_pk_add_f32 v[16:17], v[10:11], v[12:13] op_sel:[0,1] op_sel_hi:[1,0] neg_lo:[0,1] neg_hi:[0,1]
	v_pk_add_f32 v[12:13], v[4:5], v[8:9]
	v_pk_add_f32 v[18:19], v[4:5], v[8:9] neg_lo:[0,1] neg_hi:[0,1]
	v_pk_fma_f32 v[12:13], v[12:13], 0.5, v[0:1] op_sel_hi:[1,0,1] neg_lo:[1,0,0] neg_hi:[1,0,0]
	v_pk_mul_f32 v[18:19], v[18:19], s[8:9] op_sel_hi:[1,0]
	v_mov_b32_e32 v10, v16
	v_pk_add_f32 v[20:21], v[18:19], v[12:13] op_sel:[1,0] op_sel_hi:[0,1]
	v_pk_add_f32 v[24:25], v[12:13], v[18:19] op_sel:[0,1] op_sel_hi:[1,0] neg_lo:[0,1] neg_hi:[0,1]
	v_mul_f32_e32 v16, 0xbf5db3d7, v21
	v_mov_b32_e32 v11, v15
	v_mov_b32_e32 v18, v20
	;; [unrolled: 1-line block ×3, first 2 shown]
	v_mul_f32_e32 v15, 0x3f5db3d7, v24
	v_fmac_f32_e32 v16, 0.5, v24
	v_pk_mul_f32 v[24:25], v[22:23], v[84:85] op_sel_hi:[1,0]
	v_mov_b32_e32 v20, v85
	v_fmac_f32_e32 v15, 0.5, v21
	v_pk_fma_f32 v[20:21], v[22:23], v[20:21], v[24:25] op_sel:[0,0,1] op_sel_hi:[1,1,0]
	v_pk_fma_f32 v[22:23], v[22:23], v[84:85], v[24:25] op_sel:[0,1,1] op_sel_hi:[1,1,0] neg_lo:[1,0,0] neg_hi:[1,0,0]
	v_pk_mul_f32 v[28:29], v[18:19], 0.5 op_sel_hi:[1,0]
	v_mov_b32_e32 v22, v87
	v_pk_mul_f32 v[24:25], v[26:27], v[22:23] op_sel_hi:[1,0]
	v_mov_b32_e32 v21, v23
	v_pk_fma_f32 v[22:23], v[26:27], v[86:87], v[24:25] op_sel:[0,0,1] op_sel_hi:[1,1,0] neg_lo:[0,0,1] neg_hi:[0,0,1]
	v_pk_fma_f32 v[24:25], v[26:27], v[86:87], v[24:25] op_sel:[0,0,1] op_sel_hi:[1,0,0]
	v_pk_mul_f32 v[26:27], v[36:37], v[58:59] op_sel_hi:[1,0]
	v_mov_b32_e32 v24, v59
	v_mov_b32_e32 v23, v25
	v_pk_fma_f32 v[24:25], v[36:37], v[24:25], v[26:27] op_sel:[0,0,1] op_sel_hi:[1,1,0]
	v_pk_fma_f32 v[26:27], v[36:37], v[58:59], v[26:27] op_sel:[0,1,1] op_sel_hi:[1,1,0] neg_lo:[1,0,0] neg_hi:[1,0,0]
	v_pk_fma_f32 v[18:19], v[18:19], s[8:9], v[28:29] op_sel:[0,0,1] op_sel_hi:[1,1,0] neg_lo:[0,0,1] neg_hi:[0,0,1]
	v_mov_b32_e32 v26, v61
	v_pk_mul_f32 v[28:29], v[40:41], v[26:27] op_sel_hi:[1,0]
	v_mov_b32_e32 v25, v27
	v_pk_fma_f32 v[26:27], v[40:41], v[60:61], v[28:29] op_sel:[0,0,1] op_sel_hi:[1,1,0] neg_lo:[0,0,1] neg_hi:[0,0,1]
	v_pk_fma_f32 v[28:29], v[40:41], v[60:61], v[28:29] op_sel:[0,0,1] op_sel_hi:[1,0,0]
	v_add_u32_e32 v84, 0x2000, v216
	v_mov_b32_e32 v28, v49
	v_mov_b32_e32 v27, v29
	v_pk_fma_f32 v[28:29], v[44:45], v[28:29], v[30:31] op_sel:[0,0,1] op_sel_hi:[1,1,0]
	v_pk_fma_f32 v[30:31], v[44:45], v[48:49], v[30:31] op_sel:[0,1,1] op_sel_hi:[1,1,0] neg_lo:[1,0,0] neg_hi:[1,0,0]
	v_pk_add_f32 v[36:37], v[22:23], v[26:27] neg_lo:[0,1] neg_hi:[0,1]
	v_mov_b32_e32 v29, v31
	v_pk_add_f32 v[30:31], v[22:23], v[26:27]
	v_pk_mul_f32 v[36:37], v[36:37], s[8:9] op_sel_hi:[1,0]
	v_pk_fma_f32 v[30:31], v[30:31], 0.5, v[32:33] op_sel_hi:[1,0,1] neg_lo:[1,0,0] neg_hi:[1,0,0]
	v_pk_add_f32 v[42:43], v[24:25], v[28:29] neg_lo:[0,1] neg_hi:[0,1]
	v_pk_add_f32 v[38:39], v[36:37], v[30:31] op_sel:[1,0] op_sel_hi:[0,1]
	v_pk_add_f32 v[40:41], v[30:31], v[36:37] op_sel:[0,1] op_sel_hi:[1,0] neg_lo:[0,1] neg_hi:[0,1]
	v_pk_add_f32 v[36:37], v[24:25], v[28:29]
	v_pk_mul_f32 v[42:43], v[42:43], s[8:9] op_sel_hi:[1,0]
	v_pk_fma_f32 v[36:37], v[36:37], 0.5, v[20:21] op_sel_hi:[1,0,1] neg_lo:[1,0,0] neg_hi:[1,0,0]
	v_mov_b32_e32 v30, v40
	v_pk_add_f32 v[44:45], v[42:43], v[36:37] op_sel:[1,0] op_sel_hi:[0,1]
	v_pk_add_f32 v[42:43], v[36:37], v[42:43] op_sel:[0,1] op_sel_hi:[1,0] neg_lo:[0,1] neg_hi:[0,1]
	v_mov_b32_e32 v31, v39
	v_mul_f32_e32 v39, 0x3f5db3d7, v42
	v_mul_f32_e32 v40, 0xbf5db3d7, v45
	v_fmac_f32_e32 v39, 0.5, v45
	v_fmac_f32_e32 v40, 0.5, v42
	v_mov_b32_e32 v47, v43
	v_add_f32_e32 v36, v38, v39
	v_add_f32_e32 v37, v41, v40
	v_sub_f32_e32 v38, v38, v39
	v_sub_f32_e32 v39, v41, v40
	ds_read2_b64 v[40:43], v216 offset0:120 offset1:180
	ds_read2_b64 v[100:103], v221 offset0:96 offset1:156
	;; [unrolled: 1-line block ×3, first 2 shown]
	v_mov_b32_e32 v46, v44
	ds_read2_b64 v[108:111], v84 offset0:176 offset1:236
	ds_read2_b64 v[112:115], v71 offset0:24 offset1:84
	v_pk_mul_f32 v[48:49], v[46:47], 0.5 op_sel_hi:[1,0]
	s_waitcnt lgkmcnt(3)
	v_pk_mul_f32 v[66:67], v[100:101], v[250:251] op_sel:[0,1]
	v_pk_mul_f32 v[50:51], v[102:103], v[54:55] op_sel:[0,1]
	v_pk_fma_f32 v[86:87], v[100:101], v[250:251], v[66:67] op_sel:[0,0,1] op_sel_hi:[1,1,0] neg_lo:[0,0,1] neg_hi:[0,0,1]
	v_pk_fma_f32 v[66:67], v[100:101], v[250:251], v[66:67] op_sel:[0,0,1] op_sel_hi:[1,0,0]
	v_accvgpr_write_b32 a131, v91
	v_mov_b32_e32 v66, v253
	v_pk_fma_f32 v[46:47], v[46:47], s[8:9], v[48:49] op_sel:[0,0,1] op_sel_hi:[1,1,0] neg_lo:[0,0,1] neg_hi:[0,0,1]
	v_pk_fma_f32 v[48:49], v[102:103], v[54:55], v[50:51] op_sel:[0,0,1] op_sel_hi:[1,1,0] neg_lo:[0,0,1] neg_hi:[0,0,1]
	v_pk_fma_f32 v[50:51], v[102:103], v[54:55], v[50:51] op_sel:[0,0,1] op_sel_hi:[1,0,0]
	v_mov_b32_e32 v87, v67
	s_waitcnt lgkmcnt(2)
	v_pk_mul_f32 v[66:67], v[104:105], v[66:67] op_sel_hi:[1,0]
	v_accvgpr_write_b32 a130, v90
	v_accvgpr_write_b32 a129, v89
	;; [unrolled: 1-line block ×3, first 2 shown]
	v_add_u32_e32 v85, 0x3800, v216
	v_mov_b32_e32 v50, v57
	v_pk_fma_f32 v[88:89], v[104:105], v[252:253], v[66:67] op_sel:[0,0,1] op_sel_hi:[1,1,0] neg_lo:[0,0,1] neg_hi:[0,0,1]
	v_pk_fma_f32 v[66:67], v[104:105], v[252:253], v[66:67] op_sel:[0,0,1] op_sel_hi:[1,0,0]
	v_accvgpr_write_b32 a93, v61
	ds_read2_b64 v[116:119], v85 offset0:128 offset1:188
	v_mov_b32_e32 v49, v51
	v_pk_mul_f32 v[50:51], v[106:107], v[50:51] op_sel_hi:[1,0]
	v_mov_b32_e32 v89, v67
	s_waitcnt lgkmcnt(2)
	v_pk_mul_f32 v[66:67], v[108:109], v[240:241] op_sel:[0,1]
	v_accvgpr_write_b32 a92, v60
	v_accvgpr_write_b32 a91, v59
	;; [unrolled: 1-line block ×3, first 2 shown]
	v_pk_fma_f32 v[58:59], v[106:107], v[56:57], v[50:51] op_sel:[0,0,1] op_sel_hi:[1,1,0] neg_lo:[0,0,1] neg_hi:[0,0,1]
	v_pk_fma_f32 v[50:51], v[106:107], v[56:57], v[50:51] op_sel:[0,0,1] op_sel_hi:[1,0,0]
	v_pk_fma_f32 v[90:91], v[108:109], v[240:241], v[66:67] op_sel:[0,0,1] op_sel_hi:[1,1,0] neg_lo:[0,0,1] neg_hi:[0,0,1]
	v_pk_fma_f32 v[66:67], v[108:109], v[240:241], v[66:67] op_sel:[0,0,1] op_sel_hi:[1,0,0]
	v_mov_b32_e32 v59, v51
	v_pk_mul_f32 v[50:51], v[110:111], v[246:247] op_sel:[0,1]
	v_mov_b32_e32 v66, v243
	v_pk_fma_f32 v[54:55], v[110:111], v[246:247], v[50:51] op_sel:[0,0,1] op_sel_hi:[1,1,0] neg_lo:[0,0,1] neg_hi:[0,0,1]
	v_pk_fma_f32 v[50:51], v[110:111], v[246:247], v[50:51] op_sel:[0,0,1] op_sel_hi:[1,0,0]
	v_mov_b32_e32 v91, v67
	s_waitcnt lgkmcnt(1)
	v_pk_mul_f32 v[66:67], v[112:113], v[66:67] op_sel_hi:[1,0]
	ds_read2_b64 v[104:107], v220 offset0:104 offset1:164
	v_mov_b32_e32 v50, v249
	v_pk_fma_f32 v[122:123], v[112:113], v[242:243], v[66:67] op_sel:[0,0,1] op_sel_hi:[1,1,0] neg_lo:[0,0,1] neg_hi:[0,0,1]
	v_pk_fma_f32 v[66:67], v[112:113], v[242:243], v[66:67] op_sel:[0,0,1] op_sel_hi:[1,0,0]
	v_mov_b32_e32 v55, v51
	v_pk_mul_f32 v[50:51], v[114:115], v[50:51] op_sel_hi:[1,0]
	v_mov_b32_e32 v123, v67
	s_waitcnt lgkmcnt(1)
	v_pk_mul_f32 v[66:67], v[116:117], v[74:75] op_sel:[0,1]
	v_pk_fma_f32 v[62:63], v[114:115], v[248:249], v[50:51] op_sel:[0,0,1] op_sel_hi:[1,1,0] neg_lo:[0,0,1] neg_hi:[0,0,1]
	v_pk_fma_f32 v[50:51], v[114:115], v[248:249], v[50:51] op_sel:[0,0,1] op_sel_hi:[1,0,0]
	v_pk_fma_f32 v[124:125], v[116:117], v[74:75], v[66:67] op_sel:[0,0,1] op_sel_hi:[1,1,0] neg_lo:[0,0,1] neg_hi:[0,0,1]
	v_pk_fma_f32 v[66:67], v[116:117], v[74:75], v[66:67] op_sel:[0,0,1] op_sel_hi:[1,0,0]
	v_mov_b32_e32 v63, v51
	v_pk_mul_f32 v[50:51], v[118:119], v[52:53] op_sel:[0,1]
	v_mov_b32_e32 v125, v67
	v_pk_add_f32 v[100:101], v[86:87], v[90:91]
	v_pk_fma_f32 v[60:61], v[118:119], v[52:53], v[50:51] op_sel:[0,0,1] op_sel_hi:[1,1,0] neg_lo:[0,0,1] neg_hi:[0,0,1]
	v_pk_fma_f32 v[50:51], v[118:119], v[52:53], v[50:51] op_sel:[0,0,1] op_sel_hi:[1,0,0]
	v_pk_add_f32 v[128:129], v[100:101], v[124:125]
	ds_read2_b64 v[100:103], v216 offset1:60
	ds_read2_b64 v[108:111], v219 offset0:80 offset1:140
	ds_read2_b64 v[112:115], v84 offset0:56 offset1:116
	;; [unrolled: 1-line block ×3, first 2 shown]
	s_waitcnt lgkmcnt(4)
	v_pk_mul_f32 v[120:121], v[106:107], v[232:233] op_sel:[0,1]
	v_pk_mul_f32 v[138:139], v[104:105], v[228:229] op_sel:[0,1]
	v_pk_fma_f32 v[132:133], v[106:107], v[232:233], v[120:121] op_sel:[0,0,1] op_sel_hi:[1,1,0] neg_lo:[0,0,1] neg_hi:[0,0,1]
	v_pk_fma_f32 v[106:107], v[106:107], v[232:233], v[120:121] op_sel:[0,0,1] op_sel_hi:[1,0,0]
	v_pk_fma_f32 v[140:141], v[104:105], v[228:229], v[138:139] op_sel:[0,0,1] op_sel_hi:[1,1,0] neg_lo:[0,0,1] neg_hi:[0,0,1]
	v_mov_b32_e32 v106, v235
	v_mov_b32_e32 v133, v107
	s_waitcnt lgkmcnt(2)
	v_pk_mul_f32 v[106:107], v[110:111], v[106:107] op_sel_hi:[1,0]
	v_pk_fma_f32 v[104:105], v[104:105], v[228:229], v[138:139] op_sel:[0,0,1] op_sel_hi:[1,0,0]
	v_pk_fma_f32 v[134:135], v[110:111], v[234:235], v[106:107] op_sel:[0,0,1] op_sel_hi:[1,1,0] neg_lo:[0,0,1] neg_hi:[0,0,1]
	v_pk_fma_f32 v[106:107], v[110:111], v[234:235], v[106:107] op_sel:[0,0,1] op_sel_hi:[1,0,0]
	v_mov_b32_e32 v104, v231
	v_mov_b32_e32 v135, v107
	s_waitcnt lgkmcnt(1)
	v_pk_mul_f32 v[106:107], v[114:115], v[224:225] op_sel:[0,1]
	v_mov_b32_e32 v141, v105
	v_pk_fma_f32 v[110:111], v[114:115], v[224:225], v[106:107] op_sel:[0,0,1] op_sel_hi:[1,1,0] neg_lo:[0,0,1] neg_hi:[0,0,1]
	v_pk_fma_f32 v[106:107], v[114:115], v[224:225], v[106:107] op_sel:[0,0,1] op_sel_hi:[1,0,0]
	v_pk_mul_f32 v[104:105], v[108:109], v[104:105] op_sel_hi:[1,0]
	v_mov_b32_e32 v106, v227
	v_mov_b32_e32 v111, v107
	s_waitcnt lgkmcnt(0)
	v_pk_mul_f32 v[106:107], v[118:119], v[106:107] op_sel_hi:[1,0]
	v_pk_fma_f32 v[138:139], v[108:109], v[230:231], v[104:105] op_sel:[0,0,1] op_sel_hi:[1,1,0] neg_lo:[0,0,1] neg_hi:[0,0,1]
	v_pk_fma_f32 v[104:105], v[108:109], v[230:231], v[104:105] op_sel:[0,0,1] op_sel_hi:[1,0,0]
	v_pk_fma_f32 v[114:115], v[118:119], v[226:227], v[106:107] op_sel:[0,0,1] op_sel_hi:[1,1,0] neg_lo:[0,0,1] neg_hi:[0,0,1]
	v_pk_fma_f32 v[106:107], v[118:119], v[226:227], v[106:107] op_sel:[0,0,1] op_sel_hi:[1,0,0]
	ds_read2_b64 v[118:121], v85 offset0:8 offset1:68
	v_mov_b32_e32 v139, v105
	v_pk_mul_f32 v[104:105], v[112:113], v[92:93] op_sel:[0,1]
	v_mov_b32_e32 v115, v107
	v_pk_fma_f32 v[108:109], v[112:113], v[92:93], v[104:105] op_sel:[0,0,1] op_sel_hi:[1,1,0] neg_lo:[0,0,1] neg_hi:[0,0,1]
	v_pk_fma_f32 v[104:105], v[112:113], v[92:93], v[104:105] op_sel:[0,0,1] op_sel_hi:[1,0,0]
	s_waitcnt lgkmcnt(0)
	v_pk_mul_f32 v[144:145], v[120:121], v[82:83] op_sel:[0,1]
	v_mov_b32_e32 v104, v95
	v_mov_b32_e32 v109, v105
	v_pk_mul_f32 v[104:105], v[116:117], v[104:105] op_sel_hi:[1,0]
	v_pk_fma_f32 v[146:147], v[120:121], v[82:83], v[144:145] op_sel:[0,0,1] op_sel_hi:[1,1,0] neg_lo:[0,0,1] neg_hi:[0,0,1]
	v_pk_fma_f32 v[112:113], v[116:117], v[94:95], v[104:105] op_sel:[0,0,1] op_sel_hi:[1,1,0] neg_lo:[0,0,1] neg_hi:[0,0,1]
	v_pk_fma_f32 v[104:105], v[116:117], v[94:95], v[104:105] op_sel:[0,0,1] op_sel_hi:[1,0,0]
	v_pk_fma_f32 v[120:121], v[120:121], v[82:83], v[144:145] op_sel:[0,0,1] op_sel_hi:[1,0,0]
	v_mov_b32_e32 v113, v105
	v_pk_mul_f32 v[104:105], v[118:119], v[80:81] op_sel:[0,1]
	v_pk_add_f32 v[144:145], v[138:139], v[112:113]
	v_pk_fma_f32 v[116:117], v[118:119], v[80:81], v[104:105] op_sel:[0,0,1] op_sel_hi:[1,1,0] neg_lo:[0,0,1] neg_hi:[0,0,1]
	v_pk_fma_f32 v[104:105], v[118:119], v[80:81], v[104:105] op_sel:[0,0,1] op_sel_hi:[1,0,0]
	v_pk_add_f32 v[118:119], v[140:141], v[108:109]
	v_mov_b32_e32 v117, v105
	v_pk_add_f32 v[104:105], v[100:101], v[138:139]
	v_pk_fma_f32 v[100:101], v[144:145], 0.5, v[100:101] op_sel_hi:[1,0,1] neg_lo:[1,0,0] neg_hi:[1,0,0]
	v_pk_add_f32 v[144:145], v[108:109], v[116:117]
	v_pk_add_f32 v[108:109], v[108:109], v[116:117] neg_lo:[0,1] neg_hi:[0,1]
	v_pk_fma_f32 v[140:141], v[144:145], 0.5, v[140:141] op_sel_hi:[1,0,1] neg_lo:[1,0,0] neg_hi:[1,0,0]
	v_pk_add_f32 v[104:105], v[104:105], v[112:113]
	v_pk_add_f32 v[118:119], v[118:119], v[116:117]
	v_pk_add_f32 v[112:113], v[138:139], v[112:113] neg_lo:[0,1] neg_hi:[0,1]
	v_pk_fma_f32 v[116:117], v[108:109], s[8:9], v[140:141] op_sel:[0,0,1] op_sel_hi:[1,0,0]
	v_pk_fma_f32 v[108:109], v[108:109], s[8:9], v[140:141] op_sel:[0,0,1] op_sel_hi:[1,0,0] neg_lo:[1,0,0] neg_hi:[1,0,0]
	v_pk_mul_f32 v[112:113], v[112:113], s[8:9] op_sel_hi:[1,0]
	v_mov_b32_e32 v140, v116
	v_mov_b32_e32 v141, v109
	v_mul_f32_e32 v75, 0xbf5db3d7, v117
	v_pk_add_f32 v[138:139], v[112:113], v[100:101] op_sel:[1,0] op_sel_hi:[0,1]
	v_pk_add_f32 v[100:101], v[100:101], v[112:113] op_sel:[0,1] op_sel_hi:[1,0] neg_lo:[0,1] neg_hi:[0,1]
	v_mul_f32_e32 v74, 0x3f5db3d7, v108
	v_fmac_f32_e32 v75, 0.5, v108
	v_pk_mul_f32 v[108:109], v[140:141], 0.5 op_sel_hi:[1,0]
	v_mov_b32_e32 v112, v100
	v_mov_b32_e32 v113, v139
	v_pk_fma_f32 v[108:109], v[140:141], s[8:9], v[108:109] op_sel:[0,0,1] op_sel_hi:[1,1,0] neg_lo:[0,0,1] neg_hi:[0,0,1]
	v_pk_add_f32 v[142:143], v[104:105], v[118:119]
	v_mov_b32_e32 v147, v121
	v_fmac_f32_e32 v74, 0.5, v117
	v_pk_add_f32 v[140:141], v[112:113], v[108:109]
	v_pk_add_f32 v[104:105], v[104:105], v[118:119] neg_lo:[0,1] neg_hi:[0,1]
	s_waitcnt lgkmcnt(0)
	; wave barrier
	v_add_f32_e32 v117, v101, v75
	v_sub_f32_e32 v100, v138, v74
	v_sub_f32_e32 v101, v101, v75
	ds_write2_b64 v149, v[140:141], v[104:105] offset0:20 offset1:30
	v_pk_add_f32 v[104:105], v[112:113], v[108:109] neg_lo:[0,1] neg_hi:[0,1]
	v_pk_add_f32 v[108:109], v[110:111], v[146:147]
	v_pk_add_f32 v[136:137], v[132:133], v[110:111]
	ds_write2_b64 v149, v[100:101], v[104:105] offset0:40 offset1:50
	v_pk_add_f32 v[100:101], v[134:135], v[114:115]
	v_pk_fma_f32 v[108:109], v[108:109], 0.5, v[132:133] op_sel_hi:[1,0,1] neg_lo:[1,0,0] neg_hi:[1,0,0]
	v_pk_add_f32 v[110:111], v[110:111], v[146:147] neg_lo:[0,1] neg_hi:[0,1]
	v_pk_add_f32 v[106:107], v[102:103], v[134:135]
	v_pk_fma_f32 v[100:101], v[100:101], 0.5, v[102:103] op_sel_hi:[1,0,1] neg_lo:[1,0,0] neg_hi:[1,0,0]
	v_pk_add_f32 v[102:103], v[134:135], v[114:115] neg_lo:[0,1] neg_hi:[0,1]
	v_pk_fma_f32 v[112:113], v[110:111], s[8:9], v[108:109] op_sel:[0,0,1] op_sel_hi:[1,0,0]
	v_pk_fma_f32 v[108:109], v[110:111], s[8:9], v[108:109] op_sel:[0,0,1] op_sel_hi:[1,0,0] neg_lo:[1,0,0] neg_hi:[1,0,0]
	v_pk_mul_f32 v[102:103], v[102:103], s[8:9] op_sel_hi:[1,0]
	v_mov_b32_e32 v110, v112
	v_mov_b32_e32 v111, v109
	v_mul_f32_e32 v75, 0xbf5db3d7, v113
	v_add_f32_e32 v116, v138, v74
	v_pk_add_f32 v[104:105], v[102:103], v[100:101] op_sel:[1,0] op_sel_hi:[0,1]
	v_pk_add_f32 v[100:101], v[100:101], v[102:103] op_sel:[0,1] op_sel_hi:[1,0] neg_lo:[0,1] neg_hi:[0,1]
	v_mul_f32_e32 v74, 0x3f5db3d7, v108
	v_fmac_f32_e32 v75, 0.5, v108
	v_pk_mul_f32 v[108:109], v[110:111], 0.5 op_sel_hi:[1,0]
	v_mov_b32_e32 v102, v100
	v_mov_b32_e32 v103, v105
	v_fmac_f32_e32 v74, 0.5, v113
	v_pk_fma_f32 v[108:109], v[110:111], s[8:9], v[108:109] op_sel:[0,0,1] op_sel_hi:[1,1,0] neg_lo:[0,0,1] neg_hi:[0,0,1]
	v_add_f32_e32 v113, v101, v75
	v_pk_add_f32 v[110:111], v[102:103], v[108:109]
	v_sub_f32_e32 v100, v104, v74
	v_sub_f32_e32 v101, v101, v75
	v_pk_add_f32 v[102:103], v[102:103], v[108:109] neg_lo:[0,1] neg_hi:[0,1]
	ds_write2_b64 v149, v[142:143], v[116:117] offset1:10
	ds_write2_b64 v148, v[100:101], v[102:103] offset0:40 offset1:50
	v_pk_add_f32 v[102:103], v[90:91], v[124:125]
	v_pk_add_f32 v[66:67], v[40:41], v[88:89]
	;; [unrolled: 1-line block ×3, first 2 shown]
	v_pk_add_f32 v[88:89], v[88:89], v[122:123] neg_lo:[0,1] neg_hi:[0,1]
	v_pk_fma_f32 v[86:87], v[102:103], 0.5, v[86:87] op_sel_hi:[1,0,1] neg_lo:[1,0,0] neg_hi:[1,0,0]
	v_pk_add_f32 v[90:91], v[90:91], v[124:125] neg_lo:[0,1] neg_hi:[0,1]
	v_pk_fma_f32 v[40:41], v[100:101], 0.5, v[40:41] op_sel_hi:[1,0,1] neg_lo:[1,0,0] neg_hi:[1,0,0]
	v_pk_mul_f32 v[88:89], v[88:89], s[8:9] op_sel_hi:[1,0]
	v_pk_fma_f32 v[102:103], v[90:91], s[8:9], v[86:87] op_sel:[0,0,1] op_sel_hi:[1,0,0]
	v_pk_fma_f32 v[86:87], v[90:91], s[8:9], v[86:87] op_sel:[0,0,1] op_sel_hi:[1,0,0] neg_lo:[1,0,0] neg_hi:[1,0,0]
	v_add_f32_e32 v112, v104, v74
	v_pk_add_f32 v[100:101], v[88:89], v[40:41] op_sel:[1,0] op_sel_hi:[0,1]
	v_pk_add_f32 v[40:41], v[40:41], v[88:89] op_sel:[0,1] op_sel_hi:[1,0] neg_lo:[0,1] neg_hi:[0,1]
	v_mov_b32_e32 v90, v102
	v_mov_b32_e32 v91, v87
	v_mul_f32_e32 v74, 0xbf5db3d7, v103
	v_mov_b32_e32 v88, v40
	v_mul_f32_e32 v40, 0x3f5db3d7, v86
	v_fmac_f32_e32 v74, 0.5, v86
	v_pk_mul_f32 v[86:87], v[90:91], 0.5 op_sel_hi:[1,0]
	v_pk_add_f32 v[66:67], v[66:67], v[122:123]
	v_pk_add_f32 v[106:107], v[106:107], v[114:115]
	;; [unrolled: 1-line block ×3, first 2 shown]
	v_mov_b32_e32 v89, v101
	v_pk_fma_f32 v[86:87], v[90:91], s[8:9], v[86:87] op_sel:[0,0,1] op_sel_hi:[1,1,0] neg_lo:[0,0,1] neg_hi:[0,0,1]
	v_pk_add_f32 v[130:131], v[66:67], v[128:129]
	v_pk_add_f32 v[136:137], v[106:107], v[120:121]
	v_pk_add_f32 v[104:105], v[106:107], v[120:121] neg_lo:[0,1] neg_hi:[0,1]
	v_fmac_f32_e32 v40, 0.5, v103
	v_pk_add_f32 v[90:91], v[88:89], v[86:87]
	v_pk_add_f32 v[66:67], v[66:67], v[128:129] neg_lo:[0,1] neg_hi:[0,1]
	ds_write2_b64 v148, v[136:137], v[112:113] offset1:10
	ds_write2_b64 v148, v[110:111], v[104:105] offset0:20 offset1:30
	v_add_f32_e32 v102, v100, v40
	v_add_f32_e32 v103, v41, v74
	v_sub_f32_e32 v40, v100, v40
	v_sub_f32_e32 v41, v41, v74
	ds_write2_b64 v127, v[90:91], v[66:67] offset0:20 offset1:30
	v_pk_add_f32 v[66:67], v[88:89], v[86:87] neg_lo:[0,1] neg_hi:[0,1]
	v_mov_b32_e32 v61, v51
	v_pk_add_f32 v[50:51], v[42:43], v[58:59]
	ds_write2_b64 v127, v[40:41], v[66:67] offset0:40 offset1:50
	v_pk_add_f32 v[40:41], v[58:59], v[62:63]
	v_pk_add_f32 v[50:51], v[50:51], v[62:63]
	v_pk_fma_f32 v[40:41], v[40:41], 0.5, v[42:43] op_sel_hi:[1,0,1] neg_lo:[1,0,0] neg_hi:[1,0,0]
	v_pk_add_f32 v[42:43], v[58:59], v[62:63] neg_lo:[0,1] neg_hi:[0,1]
	v_pk_add_f32 v[62:63], v[54:55], v[60:61]
	v_pk_add_f32 v[52:53], v[48:49], v[54:55]
	v_pk_mul_f32 v[42:43], v[42:43], s[8:9] op_sel_hi:[1,0]
	v_pk_fma_f32 v[48:49], v[62:63], 0.5, v[48:49] op_sel_hi:[1,0,1] neg_lo:[1,0,0] neg_hi:[1,0,0]
	v_pk_add_f32 v[54:55], v[54:55], v[60:61] neg_lo:[0,1] neg_hi:[0,1]
	v_pk_add_f32 v[52:53], v[52:53], v[60:61]
	v_pk_add_f32 v[58:59], v[42:43], v[40:41] op_sel:[1,0] op_sel_hi:[0,1]
	v_pk_fma_f32 v[60:61], v[54:55], s[8:9], v[48:49] op_sel:[0,0,1] op_sel_hi:[1,0,0]
	v_pk_fma_f32 v[48:49], v[54:55], s[8:9], v[48:49] op_sel:[0,0,1] op_sel_hi:[1,0,0] neg_lo:[1,0,0] neg_hi:[1,0,0]
	v_pk_add_f32 v[40:41], v[40:41], v[42:43] op_sel:[0,1] op_sel_hi:[1,0] neg_lo:[0,1] neg_hi:[0,1]
	v_mov_b32_e32 v43, v59
	v_mov_b32_e32 v54, v60
	;; [unrolled: 1-line block ×3, first 2 shown]
	v_mul_f32_e32 v59, 0xbf5db3d7, v61
	v_mov_b32_e32 v42, v40
	v_mul_f32_e32 v40, 0x3f5db3d7, v48
	v_fmac_f32_e32 v59, 0.5, v48
	v_pk_mul_f32 v[48:49], v[54:55], 0.5 op_sel_hi:[1,0]
	v_pk_add_f32 v[22:23], v[32:33], v[22:23]
	v_pk_add_f32 v[20:21], v[20:21], v[24:25]
	;; [unrolled: 1-line block ×4, first 2 shown]
	v_fmac_f32_e32 v40, 0.5, v61
	v_pk_fma_f32 v[48:49], v[54:55], s[8:9], v[48:49] op_sel:[0,0,1] op_sel_hi:[1,1,0] neg_lo:[0,0,1] neg_hi:[0,0,1]
	v_pk_add_f32 v[22:23], v[22:23], v[26:27]
	v_pk_add_f32 v[20:21], v[20:21], v[28:29]
	;; [unrolled: 1-line block ×4, first 2 shown]
	v_add_f32_e32 v12, v14, v15
	v_add_f32_e32 v13, v17, v16
	v_pk_add_f32 v[44:45], v[30:31], v[46:47] neg_lo:[0,1] neg_hi:[0,1]
	v_pk_add_f32 v[56:57], v[50:51], v[52:53]
	v_add_f32_e32 v60, v58, v40
	v_add_f32_e32 v61, v41, v59
	v_pk_add_f32 v[54:55], v[42:43], v[48:49]
	v_sub_f32_e32 v40, v58, v40
	v_sub_f32_e32 v41, v41, v59
	v_pk_add_f32 v[50:51], v[50:51], v[52:53] neg_lo:[0,1] neg_hi:[0,1]
	v_pk_add_f32 v[42:43], v[42:43], v[48:49] neg_lo:[0,1] neg_hi:[0,1]
	v_pk_add_f32 v[24:25], v[22:23], v[20:21] op_sel:[0,1] op_sel_hi:[1,0] neg_lo:[0,1] neg_hi:[0,1]
	v_pk_add_f32 v[20:21], v[22:23], v[20:21] op_sel:[0,1] op_sel_hi:[1,0]
	v_pk_add_f32 v[4:5], v[2:3], v[0:1] op_sel:[0,1] op_sel_hi:[1,0] neg_lo:[0,1] neg_hi:[0,1]
	v_pk_add_f32 v[0:1], v[2:3], v[0:1] op_sel:[0,1] op_sel_hi:[1,0]
	v_sub_f32_e32 v14, v14, v15
	v_sub_f32_e32 v15, v17, v16
	v_pk_add_f32 v[16:17], v[10:11], v[18:19] neg_lo:[0,1] neg_hi:[0,1]
	ds_write2_b64 v127, v[130:131], v[102:103] offset1:10
	ds_write2_b64 v99, v[56:57], v[60:61] offset1:10
	ds_write2_b64 v99, v[54:55], v[50:51] offset0:20 offset1:30
	ds_write2_b64 v99, v[40:41], v[42:43] offset0:40 offset1:50
	v_pk_add_f32 v[30:31], v[30:31], v[46:47]
	ds_write2_b64 v97, v[20:21], v[36:37] offset1:10
	ds_write2_b64 v97, v[30:31], v[24:25] offset0:20 offset1:30
	ds_write2_b64 v97, v[38:39], v[44:45] offset0:40 offset1:50
	v_pk_add_f32 v[10:11], v[10:11], v[18:19]
	ds_write2_b64 v77, v[0:1], v[12:13] offset1:10
	ds_write2_b64 v77, v[10:11], v[4:5] offset0:20 offset1:30
	v_mad_u64_u32 v[128:129], s[16:17], v76, 40, s[14:15]
	v_mul_lo_u16_sdwa v0, v98, s13 dst_sel:DWORD dst_unused:UNUSED_PAD src0_sel:BYTE_0 src1_sel:DWORD
	ds_write2_b64 v77, v[14:15], v[16:17] offset0:40 offset1:50
	s_waitcnt lgkmcnt(0)
	; wave barrier
	s_waitcnt lgkmcnt(0)
	global_load_dwordx2 v[236:237], v[128:129], off offset:432
	global_load_dwordx4 v[56:59], v[128:129], off offset:416
	global_load_dwordx4 v[60:63], v[128:129], off offset:400
	v_lshrrev_b16_e32 v0, 13, v0
	v_mul_lo_u16_e32 v0, 60, v0
	v_sub_u16_e32 v0, v98, v0
	v_and_b32_e32 v18, 0xff, v0
	v_mad_u64_u32 v[0:1], s[16:17], v18, 40, s[14:15]
	global_load_dwordx2 v[52:53], v[0:1], off offset:432
	global_load_dwordx4 v[86:89], v[0:1], off offset:416
	global_load_dwordx4 v[164:167], v[0:1], off offset:400
	v_mul_lo_u16_sdwa v0, v96, s13 dst_sel:DWORD dst_unused:UNUSED_PAD src0_sel:BYTE_0 src1_sel:DWORD
	v_lshrrev_b16_e32 v0, 13, v0
	v_mul_lo_u16_e32 v0, 60, v0
	v_sub_u16_e32 v0, v96, v0
	v_and_b32_e32 v19, 0xff, v0
	v_mad_u64_u32 v[0:1], s[16:17], v19, 40, s[14:15]
	s_mov_b32 s13, 0x8889
	global_load_dwordx2 v[54:55], v[0:1], off offset:432
	global_load_dwordx4 v[160:163], v[0:1], off offset:416
	global_load_dwordx4 v[168:171], v[0:1], off offset:400
	v_mul_u32_u24_sdwa v0, v65, s13 dst_sel:DWORD dst_unused:UNUSED_PAD src0_sel:WORD_0 src1_sel:DWORD
	v_lshrrev_b32_e32 v0, 21, v0
	v_mul_lo_u16_e32 v0, 60, v0
	v_sub_u16_e32 v20, v65, v0
	v_mul_lo_u16_e32 v212, 40, v20
	v_lshl_add_u64 v[0:1], s[14:15], 0, v[212:213]
	global_load_dwordx2 v[32:33], v[0:1], off offset:432
	global_load_dwordx4 v[34:37], v[0:1], off offset:416
	global_load_dwordx4 v[40:43], v[0:1], off offset:400
	v_mul_u32_u24_sdwa v0, v64, s13 dst_sel:DWORD dst_unused:UNUSED_PAD src0_sel:WORD_0 src1_sel:DWORD
	v_lshrrev_b32_e32 v0, 21, v0
	v_mul_lo_u16_e32 v0, 60, v0
	v_sub_u16_e32 v21, v64, v0
	v_mul_lo_u16_e32 v212, 40, v21
	v_lshl_add_u64 v[0:1], s[14:15], 0, v[212:213]
	global_load_dwordx2 v[44:45], v[0:1], off offset:432
	global_load_dwordx4 v[46:49], v[0:1], off offset:416
	global_load_dwordx4 v[130:133], v[0:1], off offset:400
	ds_read2_b64 v[96:99], v216 offset1:60
	ds_read2_b64 v[122:125], v220 offset0:104 offset1:164
	ds_read2_b64 v[118:121], v219 offset0:80 offset1:140
	;; [unrolled: 1-line block ×5, first 2 shown]
	s_mov_b32 s13, s8
	s_mov_b32 s16, s8
	;; [unrolled: 1-line block ×3, first 2 shown]
	v_lshlrev_b32_e32 v77, 3, v18
	v_lshlrev_b32_e32 v75, 3, v19
	;; [unrolled: 1-line block ×4, first 2 shown]
	v_accvgpr_write_b32 a136, v77
	v_accvgpr_write_b32 a86, v75
	;; [unrolled: 1-line block ×3, first 2 shown]
	s_waitcnt vmcnt(14)
	v_mov_b32_e32 v38, v237
	s_waitcnt vmcnt(13)
	v_mov_b32_e32 v66, v59
	s_waitcnt vmcnt(12) lgkmcnt(4)
	v_pk_mul_f32 v[0:1], v[122:123], v[60:61] op_sel:[0,1]
	v_mov_b32_e32 v172, v63
	v_pk_fma_f32 v[2:3], v[122:123], v[60:61], v[0:1] op_sel:[0,0,1] op_sel_hi:[1,1,0] neg_lo:[0,0,1] neg_hi:[0,0,1]
	v_pk_fma_f32 v[0:1], v[122:123], v[60:61], v[0:1] op_sel:[0,0,1] op_sel_hi:[1,0,0]
	v_mov_b32_e32 v90, v61
	v_mov_b32_e32 v3, v1
	s_waitcnt lgkmcnt(3)
	v_pk_mul_f32 v[0:1], v[118:119], v[172:173] op_sel_hi:[1,0]
	s_waitcnt vmcnt(11)
	v_accvgpr_write_b32 a95, v53
	v_pk_fma_f32 v[6:7], v[118:119], v[62:63], v[0:1] op_sel:[0,0,1] op_sel_hi:[1,1,0] neg_lo:[0,0,1] neg_hi:[0,0,1]
	v_pk_fma_f32 v[0:1], v[118:119], v[62:63], v[0:1] op_sel:[0,0,1] op_sel_hi:[1,0,0]
	v_lshlrev_b32_e32 v63, 3, v21
	v_mov_b32_e32 v7, v1
	s_waitcnt lgkmcnt(2)
	v_pk_mul_f32 v[0:1], v[114:115], v[56:57] op_sel:[0,1]
	v_mov_b32_e32 v254, v57
	v_pk_fma_f32 v[10:11], v[114:115], v[56:57], v[0:1] op_sel:[0,0,1] op_sel_hi:[1,1,0] neg_lo:[0,0,1] neg_hi:[0,0,1]
	v_pk_fma_f32 v[0:1], v[114:115], v[56:57], v[0:1] op_sel:[0,0,1] op_sel_hi:[1,0,0]
	s_waitcnt vmcnt(8)
	v_accvgpr_write_b32 a111, v55
	v_mov_b32_e32 v11, v1
	s_waitcnt lgkmcnt(1)
	v_pk_mul_f32 v[0:1], v[110:111], v[66:67] op_sel_hi:[1,0]
	v_pk_add_f32 v[4:5], v[2:3], v[10:11]
	v_pk_fma_f32 v[12:13], v[110:111], v[58:59], v[0:1] op_sel:[0,0,1] op_sel_hi:[1,1,0] neg_lo:[0,0,1] neg_hi:[0,0,1]
	v_pk_fma_f32 v[0:1], v[110:111], v[58:59], v[0:1] op_sel:[0,0,1] op_sel_hi:[1,0,0]
	s_waitcnt vmcnt(4)
	v_accvgpr_write_b32 a143, v37
	v_mov_b32_e32 v13, v1
	s_waitcnt lgkmcnt(0)
	v_pk_mul_f32 v[0:1], v[106:107], v[236:237] op_sel:[0,1]
	s_waitcnt vmcnt(3)
	v_accvgpr_write_b32 a147, v43
	v_pk_fma_f32 v[14:15], v[106:107], v[236:237], v[0:1] op_sel:[0,0,1] op_sel_hi:[1,1,0] neg_lo:[0,0,1] neg_hi:[0,0,1]
	v_pk_fma_f32 v[0:1], v[106:107], v[236:237], v[0:1] op_sel:[0,0,1] op_sel_hi:[1,0,0]
	s_waitcnt vmcnt(2)
	v_accvgpr_write_b32 a149, v45
	v_mov_b32_e32 v15, v1
	v_pk_add_f32 v[0:1], v[96:97], v[6:7]
	v_pk_add_f32 v[8:9], v[4:5], v[14:15]
	;; [unrolled: 1-line block ×3, first 2 shown]
	s_waitcnt vmcnt(0)
	v_mov_b32_e32 v30, v131
	v_pk_add_f32 v[4:5], v[0:1], v[8:9] neg_lo:[0,1] neg_hi:[0,1]
	v_pk_add_f32 v[8:9], v[0:1], v[8:9]
	v_pk_add_f32 v[0:1], v[6:7], v[12:13]
	v_pk_add_f32 v[6:7], v[6:7], v[12:13] neg_lo:[0,1] neg_hi:[0,1]
	v_pk_fma_f32 v[0:1], v[0:1], 0.5, v[96:97] op_sel_hi:[1,0,1] neg_lo:[1,0,0] neg_hi:[1,0,0]
	v_pk_mul_f32 v[6:7], v[6:7], s[8:9] op_sel_hi:[1,0]
	v_accvgpr_write_b32 a157, v133
	v_pk_add_f32 v[12:13], v[0:1], v[6:7] op_sel:[0,1] op_sel_hi:[1,0]
	v_pk_add_f32 v[0:1], v[0:1], v[6:7] op_sel:[0,1] op_sel_hi:[1,0] neg_lo:[0,1] neg_hi:[0,1]
	v_pk_add_f32 v[6:7], v[10:11], v[14:15]
	v_mov_b32_e32 v16, v12
	v_pk_fma_f32 v[2:3], v[6:7], 0.5, v[2:3] op_sel_hi:[1,0,1] neg_lo:[1,0,0] neg_hi:[1,0,0]
	v_pk_add_f32 v[6:7], v[10:11], v[14:15] neg_lo:[0,1] neg_hi:[0,1]
	v_mov_b32_e32 v17, v1
	v_pk_fma_f32 v[10:11], v[6:7], s[8:9], v[2:3] op_sel:[0,0,1] op_sel_hi:[1,0,0]
	v_pk_fma_f32 v[2:3], v[6:7], s[8:9], v[2:3] op_sel:[0,0,1] op_sel_hi:[1,0,0] neg_lo:[1,0,0] neg_hi:[1,0,0]
	v_mov_b32_e32 v6, v10
	v_mov_b32_e32 v7, v3
	v_pk_mul_f32 v[14:15], v[6:7], 0.5 op_sel_hi:[1,0]
	v_mov_b32_e32 v1, v13
	v_pk_fma_f32 v[14:15], v[6:7], s[8:9], v[14:15] op_sel:[0,0,1] op_sel_hi:[1,1,0] neg_lo:[0,0,1] neg_hi:[0,0,1]
	v_pk_mul_f32 v[6:7], v[10:11], s[12:13] op_sel:[1,0]
	v_pk_add_f32 v[110:111], v[0:1], v[14:15] neg_lo:[0,1] neg_hi:[0,1]
	v_pk_fma_f32 v[10:11], v[2:3], s[16:17], v[6:7]
	v_pk_fma_f32 v[2:3], v[2:3], s[16:17], v[6:7] op_sel_hi:[0,1,1] neg_lo:[0,0,1] neg_hi:[0,0,1]
	v_mov_b32_e32 v11, v3
	v_pk_add_f32 v[6:7], v[16:17], v[10:11] neg_lo:[0,1] neg_hi:[0,1]
	v_pk_add_f32 v[10:11], v[16:17], v[10:11]
	v_pk_add_f32 v[122:123], v[0:1], v[14:15]
	ds_read2_b64 v[100:103], v222 offset0:112 offset1:172
	ds_read2_b64 v[0:3], v78 offset0:88 offset1:148
	;; [unrolled: 1-line block ×6, first 2 shown]
	s_waitcnt lgkmcnt(4)
	v_pk_mul_f32 v[28:29], v[2:3], v[130:131] op_sel_hi:[1,0]
	v_accvgpr_write_b32 a156, v132
	v_pk_fma_f32 v[96:97], v[2:3], v[30:31], v[28:29] op_sel:[0,0,1] op_sel_hi:[1,1,0]
	v_pk_fma_f32 v[2:3], v[2:3], v[130:131], v[28:29] op_sel:[0,1,1] op_sel_hi:[1,1,0] neg_lo:[1,0,0] neg_hi:[1,0,0]
	v_accvgpr_write_b32 a155, v131
	v_mov_b32_e32 v2, v133
	v_mov_b32_e32 v97, v3
	s_waitcnt lgkmcnt(3)
	v_pk_mul_f32 v[2:3], v[14:15], v[2:3] op_sel_hi:[1,0]
	v_accvgpr_write_b32 a154, v130
	v_pk_fma_f32 v[114:115], v[14:15], v[132:133], v[2:3] op_sel:[0,0,1] op_sel_hi:[1,1,0] neg_lo:[0,0,1] neg_hi:[0,0,1]
	v_pk_fma_f32 v[2:3], v[14:15], v[132:133], v[2:3] op_sel:[0,0,1] op_sel_hi:[1,0,0]
	v_mov_b32_e32 v14, v47
	v_mov_b32_e32 v115, v3
	s_waitcnt lgkmcnt(2)
	v_pk_mul_f32 v[2:3], v[18:19], v[46:47] op_sel_hi:[1,0]
	v_accvgpr_write_b32 a153, v49
	v_pk_fma_f32 v[118:119], v[18:19], v[14:15], v[2:3] op_sel:[0,0,1] op_sel_hi:[1,1,0]
	v_pk_fma_f32 v[2:3], v[18:19], v[46:47], v[2:3] op_sel:[0,1,1] op_sel_hi:[1,1,0] neg_lo:[1,0,0] neg_hi:[1,0,0]
	v_mov_b32_e32 v14, v45
	v_mov_b32_e32 v2, v49
	;; [unrolled: 1-line block ×3, first 2 shown]
	s_waitcnt lgkmcnt(1)
	v_pk_mul_f32 v[2:3], v[22:23], v[2:3] op_sel_hi:[1,0]
	v_accvgpr_write_b32 a139, v33
	v_pk_fma_f32 v[130:131], v[22:23], v[48:49], v[2:3] op_sel:[0,0,1] op_sel_hi:[1,1,0] neg_lo:[0,0,1] neg_hi:[0,0,1]
	v_pk_fma_f32 v[2:3], v[22:23], v[48:49], v[2:3] op_sel:[0,0,1] op_sel_hi:[1,0,0]
	v_accvgpr_write_b32 a152, v48
	v_mov_b32_e32 v131, v3
	s_waitcnt lgkmcnt(0)
	v_pk_mul_f32 v[2:3], v[26:27], v[44:45] op_sel_hi:[1,0]
	v_accvgpr_write_b32 a151, v47
	v_pk_fma_f32 v[132:133], v[26:27], v[14:15], v[2:3] op_sel:[0,0,1] op_sel_hi:[1,1,0]
	v_pk_fma_f32 v[2:3], v[26:27], v[44:45], v[2:3] op_sel:[0,1,1] op_sel_hi:[1,1,0] neg_lo:[1,0,0] neg_hi:[1,0,0]
	v_pk_add_f32 v[14:15], v[114:115], v[130:131] neg_lo:[0,1] neg_hi:[0,1]
	v_mov_b32_e32 v133, v3
	v_pk_add_f32 v[2:3], v[114:115], v[130:131]
	v_pk_mul_f32 v[14:15], v[14:15], s[8:9] op_sel_hi:[1,0]
	v_pk_fma_f32 v[2:3], v[2:3], 0.5, v[102:103] op_sel_hi:[1,0,1] neg_lo:[1,0,0] neg_hi:[1,0,0]
	v_pk_add_f32 v[22:23], v[118:119], v[132:133] neg_lo:[0,1] neg_hi:[0,1]
	v_pk_add_f32 v[18:19], v[14:15], v[2:3] op_sel:[1,0] op_sel_hi:[0,1]
	v_pk_add_f32 v[2:3], v[2:3], v[14:15] op_sel:[0,1] op_sel_hi:[1,0] neg_lo:[0,1] neg_hi:[0,1]
	v_pk_add_f32 v[14:15], v[118:119], v[132:133]
	v_pk_mul_f32 v[22:23], v[22:23], s[8:9] op_sel_hi:[1,0]
	v_pk_fma_f32 v[14:15], v[14:15], 0.5, v[96:97] op_sel_hi:[1,0,1] neg_lo:[1,0,0] neg_hi:[1,0,0]
	v_mov_b32_e32 v134, v2
	v_pk_add_f32 v[26:27], v[22:23], v[14:15] op_sel:[1,0] op_sel_hi:[0,1]
	v_pk_add_f32 v[14:15], v[14:15], v[22:23] op_sel:[0,1] op_sel_hi:[1,0] neg_lo:[0,1] neg_hi:[0,1]
	v_mov_b32_e32 v135, v19
	v_mov_b32_e32 v23, v15
	v_mul_f32_e32 v2, 0x3f5db3d7, v14
	v_mul_f32_e32 v15, 0xbf5db3d7, v27
	v_fmac_f32_e32 v2, 0.5, v27
	v_fmac_f32_e32 v15, 0.5, v14
	v_add_f32_e32 v136, v18, v2
	v_add_f32_e32 v137, v3, v15
	v_sub_f32_e32 v138, v18, v2
	v_sub_f32_e32 v139, v3, v15
	v_pk_mul_f32 v[2:3], v[0:1], v[40:41] op_sel_hi:[1,0]
	v_mov_b32_e32 v14, v41
	v_pk_fma_f32 v[144:145], v[0:1], v[14:15], v[2:3] op_sel:[0,0,1] op_sel_hi:[1,1,0]
	v_pk_fma_f32 v[0:1], v[0:1], v[40:41], v[2:3] op_sel:[0,1,1] op_sel_hi:[1,1,0] neg_lo:[1,0,0] neg_hi:[1,0,0]
	v_mov_b32_e32 v2, v35
	v_mov_b32_e32 v0, v43
	;; [unrolled: 1-line block ×3, first 2 shown]
	v_pk_mul_f32 v[0:1], v[12:13], v[0:1] op_sel_hi:[1,0]
	v_accvgpr_write_b32 a150, v46
	v_pk_fma_f32 v[146:147], v[12:13], v[42:43], v[0:1] op_sel:[0,0,1] op_sel_hi:[1,1,0] neg_lo:[0,0,1] neg_hi:[0,0,1]
	v_pk_fma_f32 v[0:1], v[12:13], v[42:43], v[0:1] op_sel:[0,0,1] op_sel_hi:[1,0,0]
	v_accvgpr_write_b32 a148, v44
	v_mov_b32_e32 v147, v1
	v_pk_mul_f32 v[0:1], v[16:17], v[34:35] op_sel_hi:[1,0]
	v_accvgpr_write_b32 a146, v42
	v_pk_fma_f32 v[148:149], v[16:17], v[2:3], v[0:1] op_sel:[0,0,1] op_sel_hi:[1,1,0]
	v_pk_fma_f32 v[0:1], v[16:17], v[34:35], v[0:1] op_sel:[0,1,1] op_sel_hi:[1,1,0] neg_lo:[1,0,0] neg_hi:[1,0,0]
	v_pk_mul_f32 v[2:3], v[24:25], v[32:33] op_sel_hi:[1,0]
	v_mov_b32_e32 v0, v37
	v_mov_b32_e32 v149, v1
	v_pk_mul_f32 v[0:1], v[20:21], v[0:1] op_sel_hi:[1,0]
	v_accvgpr_write_b32 a145, v41
	v_pk_fma_f32 v[150:151], v[20:21], v[36:37], v[0:1] op_sel:[0,0,1] op_sel_hi:[1,1,0] neg_lo:[0,0,1] neg_hi:[0,0,1]
	v_pk_fma_f32 v[0:1], v[20:21], v[36:37], v[0:1] op_sel:[0,0,1] op_sel_hi:[1,0,0]
	v_accvgpr_write_b32 a144, v40
	v_mov_b32_e32 v0, v33
	v_mov_b32_e32 v151, v1
	v_pk_fma_f32 v[0:1], v[24:25], v[0:1], v[2:3] op_sel:[0,0,1] op_sel_hi:[1,1,0]
	v_pk_fma_f32 v[2:3], v[24:25], v[32:33], v[2:3] op_sel:[0,1,1] op_sel_hi:[1,1,0] neg_lo:[1,0,0] neg_hi:[1,0,0]
	v_pk_add_f32 v[12:13], v[146:147], v[150:151] neg_lo:[0,1] neg_hi:[0,1]
	v_mov_b32_e32 v1, v3
	v_pk_add_f32 v[2:3], v[146:147], v[150:151]
	v_pk_add_f32 v[16:17], v[148:149], v[0:1]
	v_pk_add_f32 v[18:19], v[148:149], v[0:1] neg_lo:[0,1] neg_hi:[0,1]
	v_pk_fma_f32 v[2:3], v[2:3], 0.5, v[100:101] op_sel_hi:[1,0,1] neg_lo:[1,0,0] neg_hi:[1,0,0]
	v_pk_mul_f32 v[12:13], v[12:13], s[8:9] op_sel_hi:[1,0]
	v_pk_fma_f32 v[16:17], v[16:17], 0.5, v[144:145] op_sel_hi:[1,0,1] neg_lo:[1,0,0] neg_hi:[1,0,0]
	v_pk_mul_f32 v[18:19], v[18:19], s[8:9] op_sel_hi:[1,0]
	v_pk_add_f32 v[14:15], v[12:13], v[2:3] op_sel:[1,0] op_sel_hi:[0,1]
	v_pk_add_f32 v[12:13], v[2:3], v[12:13] op_sel:[0,1] op_sel_hi:[1,0] neg_lo:[0,1] neg_hi:[0,1]
	v_pk_add_f32 v[20:21], v[18:19], v[16:17] op_sel:[1,0] op_sel_hi:[0,1]
	v_pk_add_f32 v[16:17], v[16:17], v[18:19] op_sel:[0,1] op_sel_hi:[1,0] neg_lo:[0,1] neg_hi:[0,1]
	v_mov_b32_e32 v2, v12
	v_mov_b32_e32 v3, v15
	v_mul_f32_e32 v12, 0x3f5db3d7, v16
	v_mul_f32_e32 v15, 0xbf5db3d7, v21
	v_accvgpr_write_b32 a142, v36
	v_accvgpr_write_b32 a141, v35
	;; [unrolled: 1-line block ×4, first 2 shown]
	v_fmac_f32_e32 v12, 0.5, v21
	v_fmac_f32_e32 v15, 0.5, v16
	ds_read2_b64 v[104:107], v216 offset0:120 offset1:180
	ds_read2_b64 v[30:33], v221 offset0:96 offset1:156
	;; [unrolled: 1-line block ×6, first 2 shown]
	v_mov_b32_e32 v22, v26
	v_add_f32_e32 v152, v14, v12
	v_add_f32_e32 v153, v13, v15
	v_sub_f32_e32 v154, v14, v12
	v_sub_f32_e32 v155, v13, v15
	s_waitcnt lgkmcnt(4)
	v_pk_mul_f32 v[14:15], v[32:33], v[168:169] op_sel:[0,1]
	v_pk_mul_f32 v[28:29], v[22:23], 0.5 op_sel_hi:[1,0]
	v_pk_fma_f32 v[12:13], v[32:33], v[168:169], v[14:15] op_sel:[0,0,1] op_sel_hi:[1,1,0] neg_lo:[0,0,1] neg_hi:[0,0,1]
	v_pk_fma_f32 v[14:15], v[32:33], v[168:169], v[14:15] op_sel:[0,0,1] op_sel_hi:[1,0,0]
	v_pk_mul_f32 v[32:33], v[30:31], v[164:165] op_sel:[0,1]
	v_pk_fma_f32 v[142:143], v[22:23], s[8:9], v[28:29] op_sel:[0,0,1] op_sel_hi:[1,1,0] neg_lo:[0,0,1] neg_hi:[0,0,1]
	v_pk_fma_f32 v[28:29], v[30:31], v[164:165], v[32:33] op_sel:[0,0,1] op_sel_hi:[1,1,0] neg_lo:[0,0,1] neg_hi:[0,0,1]
	v_pk_fma_f32 v[30:31], v[30:31], v[164:165], v[32:33] op_sel:[0,0,1] op_sel_hi:[1,0,0]
	v_mov_b32_e32 v18, v20
	v_mov_b32_e32 v30, v167
	s_waitcnt lgkmcnt(3)
	v_pk_mul_f32 v[32:33], v[34:35], v[30:31] op_sel_hi:[1,0]
	v_mov_b32_e32 v29, v31
	v_pk_fma_f32 v[30:31], v[34:35], v[166:167], v[32:33] op_sel:[0,0,1] op_sel_hi:[1,1,0] neg_lo:[0,0,1] neg_hi:[0,0,1]
	v_pk_fma_f32 v[32:33], v[34:35], v[166:167], v[32:33] op_sel:[0,0,1] op_sel_hi:[1,0,0]
	s_waitcnt lgkmcnt(2)
	v_pk_mul_f32 v[34:35], v[40:41], v[86:87] op_sel:[0,1]
	v_mov_b32_e32 v19, v17
	v_mov_b32_e32 v14, v171
	;; [unrolled: 1-line block ×3, first 2 shown]
	v_pk_fma_f32 v[32:33], v[40:41], v[86:87], v[34:35] op_sel:[0,0,1] op_sel_hi:[1,1,0] neg_lo:[0,0,1] neg_hi:[0,0,1]
	v_pk_fma_f32 v[34:35], v[40:41], v[86:87], v[34:35] op_sel:[0,0,1] op_sel_hi:[1,0,0]
	v_pk_mul_f32 v[22:23], v[18:19], 0.5 op_sel_hi:[1,0]
	v_pk_mul_f32 v[16:17], v[36:37], v[14:15] op_sel_hi:[1,0]
	v_mov_b32_e32 v34, v89
	v_pk_fma_f32 v[158:159], v[18:19], s[8:9], v[22:23] op_sel:[0,0,1] op_sel_hi:[1,1,0] neg_lo:[0,0,1] neg_hi:[0,0,1]
	v_mov_b32_e32 v13, v15
	v_pk_fma_f32 v[14:15], v[36:37], v[170:171], v[16:17] op_sel:[0,0,1] op_sel_hi:[1,1,0] neg_lo:[0,0,1] neg_hi:[0,0,1]
	v_pk_fma_f32 v[16:17], v[36:37], v[170:171], v[16:17] op_sel:[0,0,1] op_sel_hi:[1,0,0]
	v_pk_mul_f32 v[18:19], v[42:43], v[160:161] op_sel:[0,1]
	v_mov_b32_e32 v33, v35
	s_waitcnt lgkmcnt(1)
	v_pk_mul_f32 v[34:35], v[44:45], v[34:35] op_sel_hi:[1,0]
	v_mov_b32_e32 v15, v17
	v_pk_fma_f32 v[16:17], v[42:43], v[160:161], v[18:19] op_sel:[0,0,1] op_sel_hi:[1,1,0] neg_lo:[0,0,1] neg_hi:[0,0,1]
	v_pk_fma_f32 v[18:19], v[42:43], v[160:161], v[18:19] op_sel:[0,0,1] op_sel_hi:[1,0,0]
	v_pk_fma_f32 v[42:43], v[44:45], v[88:89], v[34:35] op_sel:[0,0,1] op_sel_hi:[1,1,0] neg_lo:[0,0,1] neg_hi:[0,0,1]
	v_pk_fma_f32 v[34:35], v[44:45], v[88:89], v[34:35] op_sel:[0,0,1] op_sel_hi:[1,0,0]
	v_mov_b32_e32 v18, v163
	v_mov_b32_e32 v43, v35
	s_waitcnt lgkmcnt(0)
	v_pk_mul_f32 v[34:35], v[48:49], v[52:53] op_sel:[0,1]
	v_mov_b32_e32 v17, v19
	v_pk_mul_f32 v[18:19], v[46:47], v[18:19] op_sel_hi:[1,0]
	v_pk_fma_f32 v[44:45], v[48:49], v[52:53], v[34:35] op_sel:[0,0,1] op_sel_hi:[1,1,0] neg_lo:[0,0,1] neg_hi:[0,0,1]
	v_pk_fma_f32 v[34:35], v[48:49], v[52:53], v[34:35] op_sel:[0,0,1] op_sel_hi:[1,0,0]
	v_pk_mul_f32 v[48:49], v[124:125], v[60:61] op_sel_hi:[1,0]
	v_pk_fma_f32 v[24:25], v[46:47], v[162:163], v[18:19] op_sel:[0,0,1] op_sel_hi:[1,1,0] neg_lo:[0,0,1] neg_hi:[0,0,1]
	v_pk_fma_f32 v[18:19], v[46:47], v[162:163], v[18:19] op_sel:[0,0,1] op_sel_hi:[1,0,0]
	v_pk_fma_f32 v[46:47], v[124:125], v[90:91], v[48:49] op_sel:[0,0,1] op_sel_hi:[1,1,0]
	v_pk_fma_f32 v[48:49], v[124:125], v[60:61], v[48:49] op_sel:[0,1,1] op_sel_hi:[1,1,0] neg_lo:[1,0,0] neg_hi:[1,0,0]
	v_mov_b32_e32 v25, v19
	v_pk_mul_f32 v[18:19], v[50:51], v[54:55] op_sel:[0,1]
	v_mov_b32_e32 v47, v49
	v_pk_mul_f32 v[48:49], v[120:121], v[172:173] op_sel_hi:[1,0]
	v_pk_fma_f32 v[26:27], v[50:51], v[54:55], v[18:19] op_sel:[0,0,1] op_sel_hi:[1,1,0] neg_lo:[0,0,1] neg_hi:[0,0,1]
	v_pk_fma_f32 v[18:19], v[50:51], v[54:55], v[18:19] op_sel:[0,0,1] op_sel_hi:[1,0,0]
	v_accvgpr_write_b32 a94, v52
	v_pk_fma_f32 v[52:53], v[120:121], v[62:63], v[48:49] op_sel:[0,0,1] op_sel_hi:[1,1,0] neg_lo:[0,0,1] neg_hi:[0,0,1]
	v_pk_fma_f32 v[48:49], v[120:121], v[62:63], v[48:49] op_sel:[0,0,1] op_sel_hi:[1,0,0]
	v_pk_mul_f32 v[50:51], v[116:117], v[56:57] op_sel_hi:[1,0]
	v_accvgpr_write_b32 a110, v54
	v_mov_b32_e32 v53, v49
	v_pk_fma_f32 v[48:49], v[116:117], v[254:255], v[50:51] op_sel:[0,0,1] op_sel_hi:[1,1,0]
	v_pk_fma_f32 v[50:51], v[116:117], v[56:57], v[50:51] op_sel:[0,1,1] op_sel_hi:[1,1,0] neg_lo:[1,0,0] neg_hi:[1,0,0]
	v_pk_mul_f32 v[54:55], v[112:113], v[66:67] op_sel_hi:[1,0]
	v_mov_b32_e32 v49, v51
	v_pk_fma_f32 v[50:51], v[112:113], v[58:59], v[54:55] op_sel:[0,0,1] op_sel_hi:[1,1,0] neg_lo:[0,0,1] neg_hi:[0,0,1]
	v_pk_fma_f32 v[54:55], v[112:113], v[58:59], v[54:55] op_sel:[0,0,1] op_sel_hi:[1,0,0]
	v_accvgpr_write_b32 a103, v89
	v_mov_b32_e32 v51, v55
	v_pk_mul_f32 v[54:55], v[108:109], v[236:237] op_sel_hi:[1,0]
	v_pk_add_f32 v[64:65], v[52:53], v[50:51] neg_lo:[0,1] neg_hi:[0,1]
	v_pk_fma_f32 v[38:39], v[108:109], v[38:39], v[54:55] op_sel:[0,0,1] op_sel_hi:[1,1,0]
	v_pk_fma_f32 v[54:55], v[108:109], v[236:237], v[54:55] op_sel:[0,1,1] op_sel_hi:[1,1,0] neg_lo:[1,0,0] neg_hi:[1,0,0]
	v_pk_mul_f32 v[64:65], v[64:65], s[8:9] op_sel_hi:[1,0]
	v_mov_b32_e32 v39, v55
	v_pk_add_f32 v[54:55], v[52:53], v[50:51]
	v_accvgpr_write_b32 a102, v88
	v_pk_fma_f32 v[54:55], v[54:55], 0.5, v[98:99] op_sel_hi:[1,0,1] neg_lo:[1,0,0] neg_hi:[1,0,0]
	v_accvgpr_write_b32 a101, v87
	v_accvgpr_write_b32 a100, v86
	v_pk_add_f32 v[66:67], v[64:65], v[54:55] op_sel:[1,0] op_sel_hi:[0,1]
	v_pk_add_f32 v[64:65], v[54:55], v[64:65] op_sel:[0,1] op_sel_hi:[1,0] neg_lo:[0,1] neg_hi:[0,1]
	v_pk_add_f32 v[54:55], v[48:49], v[38:39]
	v_pk_add_f32 v[86:87], v[48:49], v[38:39] neg_lo:[0,1] neg_hi:[0,1]
	v_pk_fma_f32 v[54:55], v[54:55], 0.5, v[46:47] op_sel_hi:[1,0,1] neg_lo:[1,0,0] neg_hi:[1,0,0]
	v_pk_mul_f32 v[86:87], v[86:87], s[8:9] op_sel_hi:[1,0]
	v_accvgpr_write_b32 a88, v59
	v_pk_add_f32 v[88:89], v[86:87], v[54:55] op_sel:[1,0] op_sel_hi:[0,1]
	v_pk_add_f32 v[86:87], v[54:55], v[86:87] op_sel:[0,1] op_sel_hi:[1,0] neg_lo:[0,1] neg_hi:[0,1]
	v_mov_b32_e32 v90, v88
	v_mov_b32_e32 v91, v87
	v_mul_f32_e32 v57, 0x3f5db3d7, v86
	v_pk_mul_f32 v[112:113], v[90:91], 0.5 op_sel_hi:[1,0]
	v_mul_f32_e32 v59, 0xbf5db3d7, v89
	s_waitcnt lgkmcnt(0)
	; wave barrier
	ds_write2_b64 v216, v[8:9], v[10:11] offset1:60
	ds_write2_b64 v216, v[122:123], v[4:5] offset0:120 offset1:180
	ds_write2_b64 v222, v[6:7], v[110:111] offset0:112 offset1:172
	v_pk_add_f32 v[6:7], v[98:99], v[52:53]
	v_pk_add_f32 v[8:9], v[46:47], v[48:49]
	v_mov_b32_e32 v108, v64
	v_mov_b32_e32 v109, v67
	v_fmac_f32_e32 v57, 0.5, v89
	v_pk_fma_f32 v[112:113], v[90:91], s[8:9], v[112:113] op_sel:[0,0,1] op_sel_hi:[1,1,0] neg_lo:[0,0,1] neg_hi:[0,0,1]
	v_fmac_f32_e32 v59, 0.5, v86
	v_pk_add_f32 v[6:7], v[6:7], v[50:51]
	v_pk_add_f32 v[8:9], v[8:9], v[38:39]
	v_mov_b32_e32 v45, v35
	v_add_f32_e32 v54, v66, v57
	v_add_f32_e32 v55, v65, v59
	v_pk_add_f32 v[4:5], v[108:109], v[112:113]
	v_pk_add_f32 v[10:11], v[6:7], v[8:9] op_sel:[0,1] op_sel_hi:[1,0] neg_lo:[0,1] neg_hi:[0,1]
	v_pk_add_f32 v[6:7], v[6:7], v[8:9] op_sel:[0,1] op_sel_hi:[1,0]
	v_sub_f32_e32 v64, v66, v57
	v_sub_f32_e32 v65, v65, v59
	v_pk_add_f32 v[66:67], v[108:109], v[112:113] neg_lo:[0,1] neg_hi:[0,1]
	ds_write2_b64 v220, v[6:7], v[54:55] offset0:104 offset1:164
	ds_write2_b64 v221, v[4:5], v[10:11] offset0:96 offset1:156
	;; [unrolled: 1-line block ×3, first 2 shown]
	v_pk_add_f32 v[4:5], v[30:31], v[42:43]
	v_pk_add_f32 v[6:7], v[30:31], v[42:43] neg_lo:[0,1] neg_hi:[0,1]
	v_pk_add_f32 v[10:11], v[32:33], v[44:45]
	v_pk_add_f32 v[36:37], v[28:29], v[32:33]
	v_pk_fma_f32 v[4:5], v[4:5], 0.5, v[104:105] op_sel_hi:[1,0,1] neg_lo:[1,0,0] neg_hi:[1,0,0]
	v_pk_mul_f32 v[6:7], v[6:7], s[8:9] op_sel_hi:[1,0]
	v_pk_fma_f32 v[10:11], v[10:11], 0.5, v[28:29] op_sel_hi:[1,0,1] neg_lo:[1,0,0] neg_hi:[1,0,0]
	v_pk_add_f32 v[28:29], v[32:33], v[44:45] neg_lo:[0,1] neg_hi:[0,1]
	v_pk_add_f32 v[34:35], v[104:105], v[30:31]
	v_pk_add_f32 v[8:9], v[6:7], v[4:5] op_sel:[1,0] op_sel_hi:[0,1]
	v_pk_add_f32 v[4:5], v[4:5], v[6:7] op_sel:[0,1] op_sel_hi:[1,0] neg_lo:[0,1] neg_hi:[0,1]
	v_pk_fma_f32 v[30:31], v[28:29], s[8:9], v[10:11] op_sel:[0,0,1] op_sel_hi:[1,0,0]
	v_pk_fma_f32 v[10:11], v[28:29], s[8:9], v[10:11] op_sel:[0,0,1] op_sel_hi:[1,0,0] neg_lo:[1,0,0] neg_hi:[1,0,0]
	v_mov_b32_e32 v6, v4
	v_mov_b32_e32 v7, v9
	;; [unrolled: 1-line block ×4, first 2 shown]
	v_mul_f32_e32 v4, 0x3f5db3d7, v10
	v_mul_f32_e32 v9, 0xbf5db3d7, v31
	v_pk_add_f32 v[34:35], v[34:35], v[42:43]
	v_pk_add_f32 v[36:37], v[36:37], v[44:45]
	v_fmac_f32_e32 v4, 0.5, v31
	v_fmac_f32_e32 v9, 0.5, v10
	v_pk_mul_f32 v[10:11], v[28:29], 0.5 op_sel_hi:[1,0]
	v_pk_add_f32 v[40:41], v[34:35], v[36:37]
	v_add_f32_e32 v30, v8, v4
	v_add_f32_e32 v31, v5, v9
	v_pk_fma_f32 v[10:11], v[28:29], s[8:9], v[10:11] op_sel:[0,0,1] op_sel_hi:[1,1,0] neg_lo:[0,0,1] neg_hi:[0,0,1]
	v_sub_f32_e32 v4, v8, v4
	v_add_u32_e32 v8, 0x1400, v77
	v_mov_b32_e32 v27, v19
	v_pk_add_f32 v[28:29], v[6:7], v[10:11]
	v_sub_f32_e32 v5, v5, v9
	ds_write2_b64 v8, v[40:41], v[30:31] offset0:80 offset1:140
	v_add_u32_e32 v30, 0x1800, v77
	v_pk_add_f32 v[6:7], v[6:7], v[10:11] neg_lo:[0,1] neg_hi:[0,1]
	ds_write2_b64 v30, v[4:5], v[6:7] offset0:192 offset1:252
	v_pk_add_f32 v[4:5], v[14:15], v[24:25]
	v_pk_add_f32 v[6:7], v[14:15], v[24:25] neg_lo:[0,1] neg_hi:[0,1]
	v_pk_add_f32 v[10:11], v[16:17], v[26:27]
	v_pk_add_f32 v[20:21], v[12:13], v[16:17]
	v_pk_add_f32 v[8:9], v[34:35], v[36:37] neg_lo:[0,1] neg_hi:[0,1]
	v_pk_fma_f32 v[4:5], v[4:5], 0.5, v[106:107] op_sel_hi:[1,0,1] neg_lo:[1,0,0] neg_hi:[1,0,0]
	v_pk_mul_f32 v[6:7], v[6:7], s[8:9] op_sel_hi:[1,0]
	v_pk_fma_f32 v[10:11], v[10:11], 0.5, v[12:13] op_sel_hi:[1,0,1] neg_lo:[1,0,0] neg_hi:[1,0,0]
	v_pk_add_f32 v[12:13], v[16:17], v[26:27] neg_lo:[0,1] neg_hi:[0,1]
	v_pk_add_f32 v[18:19], v[106:107], v[14:15]
	ds_write2_b64 v30, v[28:29], v[8:9] offset0:72 offset1:132
	v_pk_add_f32 v[8:9], v[6:7], v[4:5] op_sel:[1,0] op_sel_hi:[0,1]
	v_pk_fma_f32 v[14:15], v[12:13], s[8:9], v[10:11] op_sel:[0,0,1] op_sel_hi:[1,0,0]
	v_pk_fma_f32 v[10:11], v[12:13], s[8:9], v[10:11] op_sel:[0,0,1] op_sel_hi:[1,0,0] neg_lo:[1,0,0] neg_hi:[1,0,0]
	v_pk_add_f32 v[4:5], v[4:5], v[6:7] op_sel:[0,1] op_sel_hi:[1,0] neg_lo:[0,1] neg_hi:[0,1]
	v_mov_b32_e32 v7, v9
	v_mov_b32_e32 v12, v14
	;; [unrolled: 1-line block ×3, first 2 shown]
	v_mul_f32_e32 v9, 0xbf5db3d7, v15
	v_mov_b32_e32 v6, v4
	v_mul_f32_e32 v4, 0x3f5db3d7, v10
	v_fmac_f32_e32 v9, 0.5, v10
	v_pk_mul_f32 v[10:11], v[12:13], 0.5 op_sel_hi:[1,0]
	v_pk_add_f32 v[18:19], v[18:19], v[24:25]
	v_pk_add_f32 v[20:21], v[20:21], v[26:27]
	v_fmac_f32_e32 v4, 0.5, v15
	v_pk_fma_f32 v[10:11], v[12:13], s[8:9], v[10:11] op_sel:[0,0,1] op_sel_hi:[1,1,0] neg_lo:[0,0,1] neg_hi:[0,0,1]
	v_add_f32_e32 v14, v8, v4
	v_add_f32_e32 v15, v5, v9
	v_pk_add_f32 v[12:13], v[6:7], v[10:11]
	v_sub_f32_e32 v4, v8, v4
	v_sub_f32_e32 v5, v5, v9
	v_add_u32_e32 v16, 0x2000, v75
	v_pk_add_f32 v[8:9], v[18:19], v[20:21] neg_lo:[0,1] neg_hi:[0,1]
	ds_write2_b64 v16, v[12:13], v[8:9] offset0:176 offset1:236
	v_pk_add_f32 v[6:7], v[6:7], v[10:11] neg_lo:[0,1] neg_hi:[0,1]
	v_add_u32_e32 v8, 0x2800, v75
	ds_write2_b64 v8, v[4:5], v[6:7] offset0:40 offset1:100
	v_pk_add_f32 v[4:5], v[100:101], v[146:147]
	v_pk_add_f32 v[6:7], v[144:145], v[148:149]
	;; [unrolled: 1-line block ×4, first 2 shown]
	v_pk_add_f32 v[156:157], v[2:3], v[158:159] neg_lo:[0,1] neg_hi:[0,1]
	v_pk_add_f32 v[6:7], v[4:5], v[0:1] op_sel:[0,1] op_sel_hi:[1,0] neg_lo:[0,1] neg_hi:[0,1]
	v_pk_add_f32 v[0:1], v[4:5], v[0:1] op_sel:[0,1] op_sel_hi:[1,0]
	v_add_u32_e32 v4, 0x2800, v74
	v_pk_add_f32 v[22:23], v[18:19], v[20:21]
	v_pk_add_f32 v[2:3], v[2:3], v[158:159]
	ds_write2_b64 v4, v[0:1], v[152:153] offset0:160 offset1:220
	v_add_u32_e32 v0, 0x3000, v74
	ds_write2_b64 v16, v[22:23], v[14:15] offset0:56 offset1:116
	ds_write2_b64 v0, v[2:3], v[6:7] offset0:24 offset1:84
	;; [unrolled: 1-line block ×3, first 2 shown]
	v_pk_add_f32 v[2:3], v[102:103], v[114:115]
	v_pk_add_f32 v[4:5], v[96:97], v[118:119]
	;; [unrolled: 1-line block ×5, first 2 shown]
	v_pk_add_f32 v[6:7], v[2:3], v[4:5] op_sel:[0,1] op_sel_hi:[1,0] neg_lo:[0,1] neg_hi:[0,1]
	v_pk_add_f32 v[2:3], v[2:3], v[4:5] op_sel:[0,1] op_sel_hi:[1,0]
	v_add_u32_e32 v4, 0x3800, v63
	v_pk_add_f32 v[140:141], v[134:135], v[142:143] neg_lo:[0,1] neg_hi:[0,1]
	ds_write2_b64 v4, v[2:3], v[136:137] offset0:8 offset1:68
	ds_write2_b64 v4, v[0:1], v[6:7] offset0:128 offset1:188
	v_add_u32_e32 v0, 0x3c00, v63
	ds_write2_b64 v0, v[138:139], v[140:141] offset0:120 offset1:180
	v_mad_u64_u32 v[0:1], s[14:15], v126, 40, s[14:15]
	s_mov_b64 s[14:15], 0x1450
	v_add_co_u32_e32 v4, vcc, s19, v0
	v_accvgpr_write_b32 a112, v160
	v_accvgpr_write_b32 a116, v164
	v_lshl_add_u64 v[2:3], v[0:1], 0, s[14:15]
	v_addc_co_u32_e32 v5, vcc, 0, v1, vcc
	s_mov_b64 s[14:15], 0x1db0
	v_accvgpr_write_b32 a113, v161
	v_accvgpr_write_b32 a114, v162
	;; [unrolled: 1-line block ×6, first 2 shown]
	s_waitcnt lgkmcnt(0)
	; wave barrier
	s_waitcnt lgkmcnt(0)
	ds_read2_b64 v[164:167], v78 offset0:88 offset1:148
	ds_read2_b64 v[160:163], v79 offset0:192 offset1:252
	;; [unrolled: 1-line block ×3, first 2 shown]
	global_load_dwordx2 v[28:29], v[128:129], off offset:2832
	global_load_dwordx4 v[136:139], v[128:129], off offset:2816
	global_load_dwordx4 v[140:143], v[128:129], off offset:2800
	global_load_dwordx2 v[36:37], v[0:1], off offset:2832
	s_nop 0
	global_load_dwordx4 v[128:131], v[0:1], off offset:2816
	global_load_dwordx4 v[132:135], v[0:1], off offset:2800
	;; [unrolled: 1-line block ×3, first 2 shown]
	global_load_dwordx2 v[52:53], v[2:3], off offset:32
	global_load_dwordx4 v[120:123], v[2:3], off offset:16
	v_lshl_add_u64 v[2:3], v[0:1], 0, s[14:15]
	global_load_dwordx4 v[116:119], v[4:5], off offset:3504
	global_load_dwordx2 v[20:21], v[2:3], off offset:32
	global_load_dwordx4 v[22:25], v[2:3], off offset:16
	s_mov_b64 s[14:15], 0x2710
	v_add_co_u32_e32 v4, vcc, s20, v0
	v_lshl_add_u64 v[2:3], v[0:1], 0, s[14:15]
	s_nop 0
	v_addc_co_u32_e32 v5, vcc, 0, v1, vcc
	s_mov_b64 s[14:15], 0x3070
	global_load_dwordx4 v[48:51], v[4:5], off offset:1808
	global_load_dwordx2 v[42:43], v[2:3], off offset:32
	global_load_dwordx4 v[44:47], v[2:3], off offset:16
	v_lshl_add_u64 v[2:3], v[0:1], 0, s[14:15]
	v_add_co_u32_e32 v0, vcc, s18, v0
	v_accvgpr_write_b32 a120, v168
	s_nop 0
	v_addc_co_u32_e32 v1, vcc, 0, v1, vcc
	global_load_dwordx4 v[150:153], v[0:1], off offset:112
	global_load_dwordx2 v[148:149], v[2:3], off offset:32
	global_load_dwordx4 v[10:13], v[2:3], off offset:16
	v_accvgpr_write_b32 a121, v169
	v_accvgpr_write_b32 a122, v170
	v_accvgpr_write_b32 a123, v171
	v_accvgpr_write_b32 a126, v172
	ds_read2_b64 v[168:171], v222 offset0:112 offset1:172
	ds_read2_b64 v[176:179], v71 offset0:144 offset1:204
	;; [unrolled: 1-line block ×3, first 2 shown]
	v_accvgpr_write_b32 a124, v61
	v_accvgpr_write_b32 a84, v63
	s_waitcnt vmcnt(17)
	v_accvgpr_write_b32 a205, v29
	v_accvgpr_write_b32 a204, v28
	s_waitcnt vmcnt(14)
	;; [unrolled: 3-line block ×3, first 2 shown]
	v_accvgpr_write_b32 a201, v53
	s_waitcnt vmcnt(7)
	v_accvgpr_write_b32 a165, v21
	s_waitcnt vmcnt(6)
	v_accvgpr_write_b32 a195, v25
	v_accvgpr_write_b32 a164, v20
	v_accvgpr_write_b32 a194, v24
	v_accvgpr_write_b32 a193, v23
	v_accvgpr_write_b32 a192, v22
	v_accvgpr_write_b32 a200, v52
	s_waitcnt vmcnt(5)
	v_accvgpr_write_b32 a191, v51
	s_waitcnt vmcnt(4)
	v_accvgpr_write_b32 a163, v43
	;; [unrolled: 2-line block ×3, first 2 shown]
	v_accvgpr_write_b32 a190, v50
	v_accvgpr_write_b32 a189, v49
	;; [unrolled: 1-line block ×4, first 2 shown]
	s_waitcnt vmcnt(2) lgkmcnt(5)
	v_pk_mul_f32 v[0:1], v[166:167], v[150:151] op_sel:[0,1]
	v_accvgpr_write_b32 a185, v45
	v_pk_fma_f32 v[2:3], v[166:167], v[150:151], v[0:1] op_sel:[0,0,1] op_sel_hi:[1,1,0] neg_lo:[0,0,1] neg_hi:[0,0,1]
	v_pk_fma_f32 v[0:1], v[166:167], v[150:151], v[0:1] op_sel:[0,0,1] op_sel_hi:[1,0,0]
	s_waitcnt vmcnt(0)
	v_accvgpr_write_b32 a161, v13
	v_mov_b32_e32 v0, v153
	v_mov_b32_e32 v3, v1
	s_waitcnt lgkmcnt(4)
	v_pk_mul_f32 v[0:1], v[162:163], v[0:1] op_sel_hi:[1,0]
	v_accvgpr_write_b32 a160, v12
	v_pk_fma_f32 v[4:5], v[162:163], v[152:153], v[0:1] op_sel:[0,0,1] op_sel_hi:[1,1,0] neg_lo:[0,0,1] neg_hi:[0,0,1]
	v_pk_fma_f32 v[0:1], v[162:163], v[152:153], v[0:1] op_sel:[0,0,1] op_sel_hi:[1,0,0]
	v_accvgpr_write_b32 a159, v11
	v_mov_b32_e32 v5, v1
	s_waitcnt lgkmcnt(3)
	v_pk_mul_f32 v[0:1], v[158:159], v[10:11] op_sel:[0,1]
	v_accvgpr_write_b32 a158, v10
	v_pk_fma_f32 v[6:7], v[158:159], v[10:11], v[0:1] op_sel:[0,0,1] op_sel_hi:[1,1,0] neg_lo:[0,0,1] neg_hi:[0,0,1]
	v_pk_fma_f32 v[0:1], v[158:159], v[10:11], v[0:1] op_sel:[0,0,1] op_sel_hi:[1,0,0]
	v_mov_b32_e32 v162, v51
	v_mov_b32_e32 v0, v13
	;; [unrolled: 1-line block ×3, first 2 shown]
	s_waitcnt lgkmcnt(1)
	v_pk_mul_f32 v[0:1], v[178:179], v[0:1] op_sel_hi:[1,0]
	v_accvgpr_write_b32 a184, v44
	v_pk_fma_f32 v[8:9], v[178:179], v[12:13], v[0:1] op_sel:[0,0,1] op_sel_hi:[1,1,0] neg_lo:[0,0,1] neg_hi:[0,0,1]
	v_pk_fma_f32 v[0:1], v[178:179], v[12:13], v[0:1] op_sel:[0,0,1] op_sel_hi:[1,0,0]
	v_accvgpr_write_b32 a162, v42
	v_mov_b32_e32 v9, v1
	s_waitcnt lgkmcnt(0)
	v_pk_mul_f32 v[0:1], v[174:175], v[148:149] op_sel:[0,1]
	v_pk_add_f32 v[12:13], v[4:5], v[8:9]
	v_pk_fma_f32 v[10:11], v[174:175], v[148:149], v[0:1] op_sel:[0,0,1] op_sel_hi:[1,1,0] neg_lo:[0,0,1] neg_hi:[0,0,1]
	v_pk_fma_f32 v[0:1], v[174:175], v[148:149], v[0:1] op_sel:[0,0,1] op_sel_hi:[1,0,0]
	v_pk_fma_f32 v[12:13], v[12:13], 0.5, v[170:171] op_sel_hi:[1,0,1] neg_lo:[1,0,0] neg_hi:[1,0,0]
	v_mov_b32_e32 v11, v1
	v_pk_add_f32 v[0:1], v[170:171], v[4:5]
	v_pk_add_f32 v[4:5], v[4:5], v[8:9] neg_lo:[0,1] neg_hi:[0,1]
	v_pk_add_f32 v[0:1], v[0:1], v[8:9]
	v_pk_mul_f32 v[4:5], v[4:5], s[8:9] op_sel_hi:[1,0]
	v_pk_add_f32 v[14:15], v[6:7], v[10:11] neg_lo:[0,1] neg_hi:[0,1]
	v_pk_add_f32 v[8:9], v[12:13], v[4:5] op_sel:[0,1] op_sel_hi:[1,0]
	v_pk_add_f32 v[4:5], v[12:13], v[4:5] op_sel:[0,1] op_sel_hi:[1,0] neg_lo:[0,1] neg_hi:[0,1]
	v_mov_b32_e32 v12, v8
	v_mov_b32_e32 v13, v5
	;; [unrolled: 1-line block ×3, first 2 shown]
	v_pk_add_f32 v[8:9], v[6:7], v[10:11]
	s_nop 0
	v_pk_fma_f32 v[8:9], v[8:9], 0.5, v[2:3] op_sel_hi:[1,0,1] neg_lo:[1,0,0] neg_hi:[1,0,0]
	v_pk_add_f32 v[2:3], v[2:3], v[6:7]
	v_pk_fma_f32 v[16:17], v[14:15], s[8:9], v[8:9] op_sel:[0,0,1] op_sel_hi:[1,0,0]
	v_pk_add_f32 v[2:3], v[2:3], v[10:11]
	v_pk_fma_f32 v[6:7], v[14:15], s[8:9], v[8:9] op_sel:[0,0,1] op_sel_hi:[1,0,0] neg_lo:[1,0,0] neg_hi:[1,0,0]
	v_pk_mul_f32 v[10:11], v[16:17], s[12:13] op_sel:[1,0]
	v_mov_b32_e32 v8, v16
	v_mov_b32_e32 v9, v7
	v_pk_fma_f32 v[14:15], v[6:7], s[16:17], v[10:11]
	v_pk_fma_f32 v[6:7], v[6:7], s[16:17], v[10:11] op_sel_hi:[0,1,1] neg_lo:[0,0,1] neg_hi:[0,0,1]
	v_mov_b32_e32 v15, v7
	v_pk_mul_f32 v[6:7], v[8:9], 0.5 op_sel_hi:[1,0]
	v_pk_add_f32 v[66:67], v[12:13], v[14:15]
	v_pk_fma_f32 v[6:7], v[8:9], s[8:9], v[6:7] op_sel:[0,0,1] op_sel_hi:[1,1,0] neg_lo:[0,0,1] neg_hi:[0,0,1]
	v_pk_add_f32 v[96:97], v[12:13], v[14:15] neg_lo:[0,1] neg_hi:[0,1]
	ds_read2_b64 v[178:181], v216 offset0:120 offset1:180
	ds_read2_b64 v[8:11], v79 offset0:72 offset1:132
	;; [unrolled: 1-line block ×3, first 2 shown]
	v_pk_add_f32 v[64:65], v[0:1], v[2:3]
	v_pk_add_f32 v[88:89], v[0:1], v[2:3] neg_lo:[0,1] neg_hi:[0,1]
	v_mov_b32_e32 v0, v127
	s_waitcnt lgkmcnt(1)
	v_pk_mul_f32 v[0:1], v[8:9], v[0:1] op_sel_hi:[1,0]
	ds_read2_b64 v[190:193], v221 offset0:96 offset1:156
	ds_read2_b64 v[186:189], v84 offset0:176 offset1:236
	;; [unrolled: 1-line block ×3, first 2 shown]
	v_pk_fma_f32 v[2:3], v[8:9], v[126:127], v[0:1] op_sel:[0,0,1] op_sel_hi:[1,1,0] neg_lo:[0,0,1] neg_hi:[0,0,1]
	v_pk_fma_f32 v[0:1], v[8:9], v[126:127], v[0:1] op_sel:[0,0,1] op_sel_hi:[1,0,0]
	v_pk_add_f32 v[86:87], v[4:5], v[6:7]
	v_mov_b32_e32 v0, v123
	v_mov_b32_e32 v3, v1
	s_waitcnt lgkmcnt(3)
	v_pk_mul_f32 v[0:1], v[12:13], v[0:1] op_sel_hi:[1,0]
	v_pk_add_f32 v[98:99], v[4:5], v[6:7] neg_lo:[0,1] neg_hi:[0,1]
	v_pk_fma_f32 v[8:9], v[12:13], v[122:123], v[0:1] op_sel:[0,0,1] op_sel_hi:[1,1,0] neg_lo:[0,0,1] neg_hi:[0,0,1]
	v_pk_fma_f32 v[0:1], v[12:13], v[122:123], v[0:1] op_sel:[0,0,1] op_sel_hi:[1,0,0]
	v_accvgpr_write_b32 a209, v67
	v_mov_b32_e32 v9, v1
	v_pk_add_f32 v[0:1], v[2:3], v[8:9]
	v_pk_add_f32 v[4:5], v[2:3], v[8:9] neg_lo:[0,1] neg_hi:[0,1]
	v_pk_fma_f32 v[0:1], v[0:1], 0.5, v[178:179] op_sel_hi:[1,0,1] neg_lo:[1,0,0] neg_hi:[1,0,0]
	v_pk_mul_f32 v[4:5], v[4:5], s[8:9] op_sel_hi:[1,0]
	v_pk_add_f32 v[2:3], v[178:179], v[2:3]
	v_pk_add_f32 v[6:7], v[0:1], v[4:5] op_sel:[0,1] op_sel_hi:[1,0]
	v_pk_add_f32 v[0:1], v[0:1], v[4:5] op_sel:[0,1] op_sel_hi:[1,0] neg_lo:[0,1] neg_hi:[0,1]
	s_waitcnt lgkmcnt(2)
	v_pk_mul_f32 v[4:5], v[192:193], v[116:117] op_sel:[0,1]
	v_mov_b32_e32 v158, v6
	v_pk_fma_f32 v[12:13], v[192:193], v[116:117], v[4:5] op_sel:[0,0,1] op_sel_hi:[1,1,0] neg_lo:[0,0,1] neg_hi:[0,0,1]
	v_pk_fma_f32 v[4:5], v[192:193], v[116:117], v[4:5] op_sel:[0,0,1] op_sel_hi:[1,0,0]
	v_mov_b32_e32 v159, v1
	v_mov_b32_e32 v4, v119
	;; [unrolled: 1-line block ×3, first 2 shown]
	v_pk_mul_f32 v[4:5], v[10:11], v[4:5] op_sel_hi:[1,0]
	v_accvgpr_write_b32 a217, v89
	v_pk_fma_f32 v[16:17], v[10:11], v[118:119], v[4:5] op_sel:[0,0,1] op_sel_hi:[1,1,0] neg_lo:[0,0,1] neg_hi:[0,0,1]
	v_pk_fma_f32 v[4:5], v[10:11], v[118:119], v[4:5] op_sel:[0,0,1] op_sel_hi:[1,0,0]
	v_accvgpr_write_b32 a221, v99
	v_mov_b32_e32 v17, v5
	s_waitcnt lgkmcnt(1)
	v_pk_mul_f32 v[4:5], v[188:189], v[22:23] op_sel:[0,1]
	v_accvgpr_write_b32 a208, v66
	v_pk_fma_f32 v[10:11], v[188:189], v[22:23], v[4:5] op_sel:[0,0,1] op_sel_hi:[1,1,0] neg_lo:[0,0,1] neg_hi:[0,0,1]
	v_pk_fma_f32 v[4:5], v[188:189], v[22:23], v[4:5] op_sel:[0,0,1] op_sel_hi:[1,0,0]
	v_accvgpr_write_b32 a207, v65
	v_mov_b32_e32 v4, v25
	v_mov_b32_e32 v11, v5
	v_pk_mul_f32 v[4:5], v[14:15], v[4:5] op_sel_hi:[1,0]
	v_accvgpr_write_b32 a206, v64
	v_pk_fma_f32 v[18:19], v[14:15], v[24:25], v[4:5] op_sel:[0,0,1] op_sel_hi:[1,1,0] neg_lo:[0,0,1] neg_hi:[0,0,1]
	v_pk_fma_f32 v[4:5], v[14:15], v[24:25], v[4:5] op_sel:[0,0,1] op_sel_hi:[1,0,0]
	v_accvgpr_write_b32 a216, v88
	v_mov_b32_e32 v19, v5
	s_waitcnt lgkmcnt(0)
	v_pk_mul_f32 v[4:5], v[184:185], v[20:21] op_sel:[0,1]
	v_pk_add_f32 v[24:25], v[16:17], v[18:19]
	v_pk_fma_f32 v[14:15], v[184:185], v[20:21], v[4:5] op_sel:[0,0,1] op_sel_hi:[1,1,0] neg_lo:[0,0,1] neg_hi:[0,0,1]
	v_pk_fma_f32 v[4:5], v[184:185], v[20:21], v[4:5] op_sel:[0,0,1] op_sel_hi:[1,0,0]
	v_pk_fma_f32 v[24:25], v[24:25], 0.5, v[180:181] op_sel_hi:[1,0,1] neg_lo:[1,0,0] neg_hi:[1,0,0]
	v_mov_b32_e32 v15, v5
	v_pk_add_f32 v[4:5], v[180:181], v[16:17]
	v_pk_add_f32 v[26:27], v[10:11], v[14:15]
	v_pk_add_f32 v[20:21], v[4:5], v[18:19]
	v_pk_add_f32 v[4:5], v[12:13], v[10:11]
	v_pk_fma_f32 v[12:13], v[26:27], 0.5, v[12:13] op_sel_hi:[1,0,1] neg_lo:[1,0,0] neg_hi:[1,0,0]
	v_pk_add_f32 v[10:11], v[10:11], v[14:15] neg_lo:[0,1] neg_hi:[0,1]
	v_pk_add_f32 v[22:23], v[4:5], v[14:15]
	v_pk_add_f32 v[16:17], v[16:17], v[18:19] neg_lo:[0,1] neg_hi:[0,1]
	v_pk_fma_f32 v[14:15], v[10:11], s[8:9], v[12:13] op_sel:[0,0,1] op_sel_hi:[1,0,0]
	v_pk_fma_f32 v[10:11], v[10:11], s[8:9], v[12:13] op_sel:[0,0,1] op_sel_hi:[1,0,0] neg_lo:[1,0,0] neg_hi:[1,0,0]
	v_pk_mul_f32 v[16:17], v[16:17], s[8:9] op_sel_hi:[1,0]
	v_mul_f32_e32 v1, 0x3f5db3d7, v10
	v_mul_f32_e32 v6, 0xbf5db3d7, v15
	v_pk_add_f32 v[18:19], v[16:17], v[24:25] op_sel:[1,0] op_sel_hi:[0,1]
	v_pk_add_f32 v[16:17], v[24:25], v[16:17] op_sel:[0,1] op_sel_hi:[1,0] neg_lo:[0,1] neg_hi:[0,1]
	v_fmac_f32_e32 v1, 0.5, v15
	v_fmac_f32_e32 v6, 0.5, v10
	v_mov_b32_e32 v12, v14
	v_mov_b32_e32 v13, v11
	v_add_f32_e32 v14, v18, v1
	v_add_f32_e32 v15, v17, v6
	v_pk_mul_f32 v[10:11], v[12:13], 0.5 op_sel_hi:[1,0]
	ds_write_b64 v216, v[14:15] offset:4320
	v_mov_b32_e32 v24, v16
	v_mov_b32_e32 v25, v19
	v_pk_fma_f32 v[10:11], v[12:13], s[8:9], v[10:11] op_sel:[0,0,1] op_sel_hi:[1,1,0] neg_lo:[0,0,1] neg_hi:[0,0,1]
	v_sub_f32_e32 v166, v18, v1
	v_sub_f32_e32 v167, v17, v6
	ds_read2_b64 v[192:195], v216 offset1:60
	ds_read2_b64 v[16:19], v220 offset0:104 offset1:164
	ds_read2_b64 v[208:211], v219 offset0:80 offset1:140
	;; [unrolled: 1-line block ×5, first 2 shown]
	v_pk_add_f32 v[170:171], v[24:25], v[10:11]
	v_pk_add_f32 v[174:175], v[24:25], v[10:11] neg_lo:[0,1] neg_hi:[0,1]
	s_waitcnt lgkmcnt(4)
	v_pk_mul_f32 v[10:11], v[16:17], v[140:141] op_sel:[0,1]
	v_pk_add_f32 v[4:5], v[20:21], v[22:23]
	v_pk_add_f32 v[180:181], v[20:21], v[22:23] neg_lo:[0,1] neg_hi:[0,1]
	v_pk_fma_f32 v[20:21], v[16:17], v[140:141], v[10:11] op_sel:[0,0,1] op_sel_hi:[1,1,0] neg_lo:[0,0,1] neg_hi:[0,0,1]
	v_pk_fma_f32 v[10:11], v[16:17], v[140:141], v[10:11] op_sel:[0,0,1] op_sel_hi:[1,0,0]
	v_mov_b32_e32 v6, v47
	v_mov_b32_e32 v10, v143
	;; [unrolled: 1-line block ×3, first 2 shown]
	s_waitcnt lgkmcnt(3)
	v_pk_mul_f32 v[10:11], v[208:209], v[10:11] op_sel_hi:[1,0]
	v_accvgpr_write_b32 a215, v87
	v_pk_fma_f32 v[16:17], v[208:209], v[142:143], v[10:11] op_sel:[0,0,1] op_sel_hi:[1,1,0] neg_lo:[0,0,1] neg_hi:[0,0,1]
	v_pk_fma_f32 v[10:11], v[208:209], v[142:143], v[10:11] op_sel:[0,0,1] op_sel_hi:[1,0,0]
	v_accvgpr_write_b32 a214, v86
	v_mov_b32_e32 v17, v11
	s_waitcnt lgkmcnt(2)
	v_pk_mul_f32 v[10:11], v[204:205], v[136:137] op_sel:[0,1]
	v_accvgpr_write_b32 a220, v98
	v_pk_fma_f32 v[22:23], v[204:205], v[136:137], v[10:11] op_sel:[0,0,1] op_sel_hi:[1,1,0] neg_lo:[0,0,1] neg_hi:[0,0,1]
	v_pk_fma_f32 v[10:11], v[204:205], v[136:137], v[10:11] op_sel:[0,0,1] op_sel_hi:[1,0,0]
	v_accvgpr_write_b32 a219, v97
	v_mov_b32_e32 v10, v139
	v_mov_b32_e32 v23, v11
	s_waitcnt lgkmcnt(1)
	v_pk_mul_f32 v[10:11], v[200:201], v[10:11] op_sel_hi:[1,0]
	v_accvgpr_write_b32 a218, v96
	v_pk_fma_f32 v[24:25], v[200:201], v[138:139], v[10:11] op_sel:[0,0,1] op_sel_hi:[1,1,0] neg_lo:[0,0,1] neg_hi:[0,0,1]
	v_pk_fma_f32 v[10:11], v[200:201], v[138:139], v[10:11] op_sel:[0,0,1] op_sel_hi:[1,0,0]
	s_nop 0
	v_mov_b32_e32 v25, v11
	s_waitcnt lgkmcnt(0)
	v_pk_mul_f32 v[10:11], v[196:197], v[28:29] op_sel:[0,1]
	s_nop 0
	v_pk_fma_f32 v[26:27], v[196:197], v[28:29], v[10:11] op_sel:[0,0,1] op_sel_hi:[1,1,0] neg_lo:[0,0,1] neg_hi:[0,0,1]
	v_pk_fma_f32 v[10:11], v[196:197], v[28:29], v[10:11] op_sel:[0,0,1] op_sel_hi:[1,0,0]
	s_nop 0
	v_mov_b32_e32 v27, v11
	v_pk_add_f32 v[10:11], v[192:193], v[16:17]
	v_pk_add_f32 v[28:29], v[22:23], v[26:27]
	;; [unrolled: 1-line block ×4, first 2 shown]
	v_pk_fma_f32 v[20:21], v[28:29], 0.5, v[20:21] op_sel_hi:[1,0,1] neg_lo:[1,0,0] neg_hi:[1,0,0]
	v_pk_add_f32 v[14:15], v[10:11], v[26:27]
	v_pk_add_f32 v[10:11], v[16:17], v[24:25]
	v_pk_add_f32 v[16:17], v[16:17], v[24:25] neg_lo:[0,1] neg_hi:[0,1]
	v_pk_fma_f32 v[10:11], v[10:11], 0.5, v[192:193] op_sel_hi:[1,0,1] neg_lo:[1,0,0] neg_hi:[1,0,0]
	v_pk_mul_f32 v[16:17], v[16:17], s[8:9] op_sel_hi:[1,0]
	v_pk_add_f32 v[22:23], v[22:23], v[26:27] neg_lo:[0,1] neg_hi:[0,1]
	v_pk_add_f32 v[24:25], v[16:17], v[10:11] op_sel:[1,0] op_sel_hi:[0,1]
	v_pk_fma_f32 v[26:27], v[22:23], s[8:9], v[20:21] op_sel:[0,0,1] op_sel_hi:[1,0,0]
	v_pk_fma_f32 v[20:21], v[22:23], s[8:9], v[20:21] op_sel:[0,0,1] op_sel_hi:[1,0,0] neg_lo:[1,0,0] neg_hi:[1,0,0]
	v_pk_add_f32 v[10:11], v[10:11], v[16:17] op_sel:[0,1] op_sel_hi:[1,0] neg_lo:[0,1] neg_hi:[0,1]
	v_mov_b32_e32 v17, v25
	v_mov_b32_e32 v22, v26
	;; [unrolled: 1-line block ×3, first 2 shown]
	v_mul_f32_e32 v1, 0x3f5db3d7, v20
	v_mul_f32_e32 v25, 0xbf5db3d7, v27
	v_fmac_f32_e32 v1, 0.5, v27
	v_fmac_f32_e32 v25, 0.5, v20
	v_pk_mul_f32 v[20:21], v[22:23], 0.5 op_sel_hi:[1,0]
	v_mov_b32_e32 v16, v10
	v_add_f32_e32 v188, v24, v1
	v_add_f32_e32 v189, v11, v25
	v_pk_fma_f32 v[20:21], v[22:23], s[8:9], v[20:21] op_sel:[0,0,1] op_sel_hi:[1,1,0] neg_lo:[0,0,1] neg_hi:[0,0,1]
	v_sub_f32_e32 v10, v24, v1
	v_sub_f32_e32 v11, v11, v25
	v_pk_mul_f32 v[24:25], v[18:19], v[132:133] op_sel:[0,1]
	v_pk_add_f32 v[22:23], v[16:17], v[20:21]
	v_pk_add_f32 v[16:17], v[16:17], v[20:21] neg_lo:[0,1] neg_hi:[0,1]
	v_pk_fma_f32 v[20:21], v[18:19], v[132:133], v[24:25] op_sel:[0,0,1] op_sel_hi:[1,1,0] neg_lo:[0,0,1] neg_hi:[0,0,1]
	v_pk_fma_f32 v[18:19], v[18:19], v[132:133], v[24:25] op_sel:[0,0,1] op_sel_hi:[1,0,0]
	v_pk_add_f32 v[184:185], v[12:13], v[14:15]
	v_mov_b32_e32 v18, v135
	v_mov_b32_e32 v21, v19
	v_pk_mul_f32 v[18:19], v[210:211], v[18:19] op_sel_hi:[1,0]
	s_nop 0
	v_pk_fma_f32 v[28:29], v[210:211], v[134:135], v[18:19] op_sel:[0,0,1] op_sel_hi:[1,1,0] neg_lo:[0,0,1] neg_hi:[0,0,1]
	v_pk_fma_f32 v[18:19], v[210:211], v[134:135], v[18:19] op_sel:[0,0,1] op_sel_hi:[1,0,0]
	s_nop 0
	v_mov_b32_e32 v29, v19
	v_pk_mul_f32 v[18:19], v[206:207], v[128:129] op_sel:[0,1]
	s_nop 0
	v_pk_fma_f32 v[30:31], v[206:207], v[128:129], v[18:19] op_sel:[0,0,1] op_sel_hi:[1,1,0] neg_lo:[0,0,1] neg_hi:[0,0,1]
	v_pk_fma_f32 v[18:19], v[206:207], v[128:129], v[18:19] op_sel:[0,0,1] op_sel_hi:[1,0,0]
	s_nop 0
	v_mov_b32_e32 v18, v131
	v_mov_b32_e32 v31, v19
	v_pk_mul_f32 v[18:19], v[202:203], v[18:19] op_sel_hi:[1,0]
	s_nop 0
	v_pk_fma_f32 v[32:33], v[202:203], v[130:131], v[18:19] op_sel:[0,0,1] op_sel_hi:[1,1,0] neg_lo:[0,0,1] neg_hi:[0,0,1]
	v_pk_fma_f32 v[18:19], v[202:203], v[130:131], v[18:19] op_sel:[0,0,1] op_sel_hi:[1,0,0]
	s_nop 0
	v_mov_b32_e32 v33, v19
	v_pk_mul_f32 v[18:19], v[198:199], v[36:37] op_sel:[0,1]
	s_nop 0
	v_pk_fma_f32 v[34:35], v[198:199], v[36:37], v[18:19] op_sel:[0,0,1] op_sel_hi:[1,1,0] neg_lo:[0,0,1] neg_hi:[0,0,1]
	v_pk_fma_f32 v[18:19], v[198:199], v[36:37], v[18:19] op_sel:[0,0,1] op_sel_hi:[1,0,0]
	v_pk_add_f32 v[36:37], v[28:29], v[32:33]
	v_mov_b32_e32 v35, v19
	v_pk_add_f32 v[18:19], v[194:195], v[28:29]
	v_pk_add_f32 v[28:29], v[28:29], v[32:33] neg_lo:[0,1] neg_hi:[0,1]
	v_pk_add_f32 v[38:39], v[30:31], v[34:35]
	v_pk_add_f32 v[24:25], v[18:19], v[32:33]
	;; [unrolled: 1-line block ×3, first 2 shown]
	v_pk_fma_f32 v[36:37], v[36:37], 0.5, v[194:195] op_sel_hi:[1,0,1] neg_lo:[1,0,0] neg_hi:[1,0,0]
	v_pk_mul_f32 v[28:29], v[28:29], s[8:9] op_sel_hi:[1,0]
	v_pk_fma_f32 v[20:21], v[38:39], 0.5, v[20:21] op_sel_hi:[1,0,1] neg_lo:[1,0,0] neg_hi:[1,0,0]
	v_pk_add_f32 v[30:31], v[30:31], v[34:35] neg_lo:[0,1] neg_hi:[0,1]
	v_pk_add_f32 v[26:27], v[18:19], v[34:35]
	v_pk_add_f32 v[32:33], v[28:29], v[36:37] op_sel:[1,0] op_sel_hi:[0,1]
	v_pk_add_f32 v[28:29], v[36:37], v[28:29] op_sel:[0,1] op_sel_hi:[1,0] neg_lo:[0,1] neg_hi:[0,1]
	v_pk_fma_f32 v[34:35], v[30:31], s[8:9], v[20:21] op_sel:[0,0,1] op_sel_hi:[1,0,0]
	v_pk_fma_f32 v[30:31], v[30:31], s[8:9], v[20:21] op_sel:[0,0,1] op_sel_hi:[1,0,0] neg_lo:[1,0,0] neg_hi:[1,0,0]
	v_mov_b32_e32 v36, v28
	v_mov_b32_e32 v38, v34
	;; [unrolled: 1-line block ×3, first 2 shown]
	v_mul_f32_e32 v28, 0xbf5db3d7, v35
	v_mul_f32_e32 v1, 0x3f5db3d7, v30
	v_fmac_f32_e32 v28, 0.5, v30
	v_pk_mul_f32 v[30:31], v[38:39], 0.5 op_sel_hi:[1,0]
	v_mov_b32_e32 v37, v33
	v_fmac_f32_e32 v1, 0.5, v35
	v_pk_fma_f32 v[34:35], v[38:39], s[8:9], v[30:31] op_sel:[0,0,1] op_sel_hi:[1,1,0] neg_lo:[0,0,1] neg_hi:[0,0,1]
	v_add_f32_e32 v21, v29, v28
	v_pk_add_f32 v[30:31], v[36:37], v[34:35]
	ds_write2_b64 v219, v[22:23], v[30:31] offset0:80 offset1:140
	v_pk_mul_f32 v[22:23], v[190:191], v[124:125] op_sel:[0,1]
	v_sub_f32_e32 v33, v29, v28
	v_pk_fma_f32 v[30:31], v[190:191], v[124:125], v[22:23] op_sel:[0,0,1] op_sel_hi:[1,1,0] neg_lo:[0,0,1] neg_hi:[0,0,1]
	v_pk_fma_f32 v[22:23], v[190:191], v[124:125], v[22:23] op_sel:[0,0,1] op_sel_hi:[1,0,0]
	v_pk_add_f32 v[28:29], v[2:3], v[8:9]
	v_mov_b32_e32 v31, v23
	v_pk_mul_f32 v[22:23], v[186:187], v[120:121] op_sel:[0,1]
	v_add_f32_e32 v20, v32, v1
	v_pk_fma_f32 v[38:39], v[186:187], v[120:121], v[22:23] op_sel:[0,0,1] op_sel_hi:[1,1,0] neg_lo:[0,0,1] neg_hi:[0,0,1]
	v_pk_fma_f32 v[22:23], v[186:187], v[120:121], v[22:23] op_sel:[0,0,1] op_sel_hi:[1,0,0]
	v_sub_f32_e32 v32, v32, v1
	v_mov_b32_e32 v39, v23
	v_pk_mul_f32 v[22:23], v[182:183], v[52:53] op_sel:[0,1]
	v_mov_b32_e32 v1, v7
	v_pk_fma_f32 v[40:41], v[182:183], v[52:53], v[22:23] op_sel:[0,0,1] op_sel_hi:[1,1,0] neg_lo:[0,0,1] neg_hi:[0,0,1]
	v_pk_fma_f32 v[22:23], v[182:183], v[52:53], v[22:23] op_sel:[0,0,1] op_sel_hi:[1,0,0]
	ds_write2_b64 v73, v[10:11], v[32:33] offset0:160 offset1:220
	v_mov_b32_e32 v41, v23
	v_pk_add_f32 v[8:9], v[38:39], v[40:41]
	v_pk_add_f32 v[22:23], v[30:31], v[38:39]
	v_pk_fma_f32 v[8:9], v[8:9], 0.5, v[30:31] op_sel_hi:[1,0,1] neg_lo:[1,0,0] neg_hi:[1,0,0]
	v_pk_add_f32 v[30:31], v[38:39], v[40:41] neg_lo:[0,1] neg_hi:[0,1]
	v_pk_add_f32 v[22:23], v[22:23], v[40:41]
	v_pk_fma_f32 v[38:39], v[30:31], s[8:9], v[8:9] op_sel:[0,0,1] op_sel_hi:[1,0,0]
	v_pk_fma_f32 v[30:31], v[30:31], s[8:9], v[8:9] op_sel:[0,0,1] op_sel_hi:[1,0,0] neg_lo:[1,0,0] neg_hi:[1,0,0]
	v_mov_b32_e32 v8, v38
	v_mov_b32_e32 v9, v31
	v_pk_mul_f32 v[40:41], v[8:9], 0.5 op_sel_hi:[1,0]
	v_pk_mul_f32 v[38:39], v[38:39], s[12:13] op_sel:[1,0]
	v_pk_fma_f32 v[40:41], v[8:9], s[8:9], v[40:41] op_sel:[0,0,1] op_sel_hi:[1,1,0] neg_lo:[0,0,1] neg_hi:[0,0,1]
	v_pk_fma_f32 v[8:9], v[30:31], s[16:17], v[38:39]
	v_pk_fma_f32 v[30:31], v[30:31], s[16:17], v[38:39] op_sel_hi:[0,1,1] neg_lo:[0,0,1] neg_hi:[0,0,1]
	v_mov_b32_e32 v9, v31
	v_pk_add_f32 v[30:31], v[0:1], v[40:41]
	v_pk_add_f32 v[0:1], v[0:1], v[40:41] neg_lo:[0,1] neg_hi:[0,1]
	ds_write_b64 v216, v[0:1] offset:15360
	v_pk_add_f32 v[0:1], v[36:37], v[34:35] neg_lo:[0,1] neg_hi:[0,1]
	v_pk_add_f32 v[38:39], v[158:159], v[8:9] neg_lo:[0,1] neg_hi:[0,1]
	ds_write2_b64 v85, v[16:17], v[0:1] offset0:8 offset1:68
	v_pk_add_f32 v[0:1], v[12:13], v[14:15] neg_lo:[0,1] neg_hi:[0,1]
	v_pk_add_f32 v[10:11], v[24:25], v[26:27] neg_lo:[0,1] neg_hi:[0,1]
	ds_write_b64 v216, v[38:39] offset:12480
	ds_write2_b64 v84, v[0:1], v[10:11] offset0:56 offset1:116
	v_pk_add_f32 v[0:1], v[28:29], v[22:23] neg_lo:[0,1] neg_hi:[0,1]
	ds_write_b64 v216, v[0:1] offset:9600
	ds_write2_b64 v79, v[30:31], v[170:171] offset0:72 offset1:132
	ds_write_b64 v216, v[180:181] offset:10080
	ds_write_b64 v216, v[166:167] offset:12960
	;; [unrolled: 1-line block ×3, first 2 shown]
	v_pk_mul_f32 v[0:1], v[164:165], v[48:49] op_sel:[0,1]
	v_pk_add_f32 v[2:3], v[28:29], v[22:23]
	v_pk_fma_f32 v[10:11], v[164:165], v[48:49], v[0:1] op_sel:[0,0,1] op_sel_hi:[1,1,0] neg_lo:[0,0,1] neg_hi:[0,0,1]
	v_pk_fma_f32 v[0:1], v[164:165], v[48:49], v[0:1] op_sel:[0,0,1] op_sel_hi:[1,0,0]
	v_pk_add_f32 v[8:9], v[158:159], v[8:9]
	v_mov_b32_e32 v11, v1
	v_pk_mul_f32 v[0:1], v[160:161], v[162:163] op_sel_hi:[1,0]
	v_pk_add_f32 v[18:19], v[24:25], v[26:27]
	v_pk_fma_f32 v[12:13], v[160:161], v[50:51], v[0:1] op_sel:[0,0,1] op_sel_hi:[1,1,0] neg_lo:[0,0,1] neg_hi:[0,0,1]
	v_pk_fma_f32 v[0:1], v[160:161], v[50:51], v[0:1] op_sel:[0,0,1] op_sel_hi:[1,0,0]
	ds_write_b64 v216, v[188:189] offset:2880
	ds_write2_b64 v216, v[184:185], v[18:19] offset1:60
	v_mov_b32_e32 v13, v1
	v_pk_mul_f32 v[0:1], v[156:157], v[44:45] op_sel:[0,1]
	ds_write2_b64 v220, v[20:21], v[8:9] offset0:164 offset1:224
	ds_write2_b64 v216, v[2:3], v[4:5] offset0:120 offset1:180
	v_pk_fma_f32 v[14:15], v[156:157], v[44:45], v[0:1] op_sel:[0,0,1] op_sel_hi:[1,1,0] neg_lo:[0,0,1] neg_hi:[0,0,1]
	v_pk_fma_f32 v[0:1], v[156:157], v[44:45], v[0:1] op_sel:[0,0,1] op_sel_hi:[1,0,0]
	v_lshl_add_u64 v[180:181], s[0:1], 0, v[212:213]
	v_mov_b32_e32 v15, v1
	v_pk_mul_f32 v[0:1], v[176:177], v[6:7] op_sel_hi:[1,0]
	v_pk_add_f32 v[22:23], v[10:11], v[14:15]
	v_pk_fma_f32 v[6:7], v[176:177], v[46:47], v[0:1] op_sel:[0,0,1] op_sel_hi:[1,1,0] neg_lo:[0,0,1] neg_hi:[0,0,1]
	v_pk_fma_f32 v[0:1], v[176:177], v[46:47], v[0:1] op_sel:[0,0,1] op_sel_hi:[1,0,0]
	v_add_u32_e32 v20, 0x1c00, v216
	v_mov_b32_e32 v7, v1
	v_pk_mul_f32 v[0:1], v[172:173], v[42:43] op_sel:[0,1]
	v_pk_add_f32 v[2:3], v[12:13], v[6:7]
	v_pk_fma_f32 v[16:17], v[172:173], v[42:43], v[0:1] op_sel:[0,0,1] op_sel_hi:[1,1,0] neg_lo:[0,0,1] neg_hi:[0,0,1]
	v_pk_fma_f32 v[0:1], v[172:173], v[42:43], v[0:1] op_sel:[0,0,1] op_sel_hi:[1,0,0]
	v_pk_add_f32 v[4:5], v[12:13], v[6:7] neg_lo:[0,1] neg_hi:[0,1]
	v_mov_b32_e32 v17, v1
	v_pk_add_f32 v[8:9], v[14:15], v[16:17]
	v_pk_add_f32 v[0:1], v[168:169], v[12:13]
	v_pk_fma_f32 v[2:3], v[2:3], 0.5, v[168:169] op_sel_hi:[1,0,1] neg_lo:[1,0,0] neg_hi:[1,0,0]
	v_pk_mul_f32 v[4:5], v[4:5], s[8:9] op_sel_hi:[1,0]
	v_pk_fma_f32 v[8:9], v[8:9], 0.5, v[10:11] op_sel_hi:[1,0,1] neg_lo:[1,0,0] neg_hi:[1,0,0]
	v_pk_add_f32 v[10:11], v[14:15], v[16:17] neg_lo:[0,1] neg_hi:[0,1]
	v_pk_add_f32 v[0:1], v[0:1], v[6:7]
	v_pk_add_f32 v[6:7], v[4:5], v[2:3] op_sel:[1,0] op_sel_hi:[0,1]
	v_pk_fma_f32 v[12:13], v[10:11], s[8:9], v[8:9] op_sel:[0,0,1] op_sel_hi:[1,0,0]
	v_pk_fma_f32 v[8:9], v[10:11], s[8:9], v[8:9] op_sel:[0,0,1] op_sel_hi:[1,0,0] neg_lo:[1,0,0] neg_hi:[1,0,0]
	v_pk_add_f32 v[2:3], v[2:3], v[4:5] op_sel:[0,1] op_sel_hi:[1,0] neg_lo:[0,1] neg_hi:[0,1]
	v_mov_b32_e32 v5, v7
	v_mov_b32_e32 v10, v12
	;; [unrolled: 1-line block ×3, first 2 shown]
	v_mul_f32_e32 v7, 0xbf5db3d7, v13
	v_mov_b32_e32 v4, v2
	v_mul_f32_e32 v2, 0x3f5db3d7, v8
	v_fmac_f32_e32 v7, 0.5, v8
	v_pk_mul_f32 v[8:9], v[10:11], 0.5 op_sel_hi:[1,0]
	v_pk_add_f32 v[22:23], v[22:23], v[16:17]
	v_fmac_f32_e32 v2, 0.5, v13
	v_pk_fma_f32 v[8:9], v[10:11], s[8:9], v[8:9] op_sel:[0,0,1] op_sel_hi:[1,1,0] neg_lo:[0,0,1] neg_hi:[0,0,1]
	v_pk_add_f32 v[24:25], v[0:1], v[22:23]
	v_add_f32_e32 v12, v6, v2
	v_add_f32_e32 v13, v3, v7
	v_pk_add_f32 v[10:11], v[4:5], v[8:9]
	v_pk_add_f32 v[0:1], v[0:1], v[22:23] neg_lo:[0,1] neg_hi:[0,1]
	v_pk_add_f32 v[4:5], v[4:5], v[8:9] neg_lo:[0,1] neg_hi:[0,1]
	v_sub_f32_e32 v2, v6, v2
	v_sub_f32_e32 v3, v3, v7
	ds_write2_b64 v222, v[24:25], v[64:65] offset0:112 offset1:172
	ds_write2_b64 v78, v[12:13], v[66:67] offset0:88 offset1:148
	;; [unrolled: 1-line block ×6, first 2 shown]
	s_waitcnt lgkmcnt(0)
	; wave barrier
	s_waitcnt lgkmcnt(0)
	global_load_dwordx2 v[0:1], v212, s[0:1]
	global_load_dwordx2 v[26:27], v212, s[0:1] offset:2208
	v_add_co_u32_e32 v4, vcc, s19, v180
	ds_read2_b64 v[176:179], v216 offset1:60
	s_nop 0
	v_addc_co_u32_e32 v5, vcc, 0, v181, vcc
	v_add_co_u32_e32 v184, vcc, s20, v180
	global_load_dwordx2 v[14:15], v215, s[0:1]
	s_nop 0
	v_addc_co_u32_e32 v185, vcc, 0, v181, vcc
	v_add_co_u32_e32 v182, vcc, s18, v180
	s_waitcnt vmcnt(2) lgkmcnt(0)
	v_mul_f32_e32 v2, v177, v1
	v_addc_co_u32_e32 v183, vcc, 0, v181, vcc
	v_mul_f32_e32 v3, v176, v1
	global_load_dwordx2 v[22:23], v[182:183], off offset:3264
	v_fma_f32 v2, v176, v0, -v2
	v_fmac_f32_e32 v3, v177, v0
	global_load_dwordx2 v[0:1], v212, s[0:1] offset:1728
	ds_write_b64 v216, v[2:3]
	ds_read2_b64 v[160:163], v216 offset0:120 offset1:216
	ds_read2_b64 v[174:177], v220 offset0:176 offset1:236
	;; [unrolled: 1-line block ×3, first 2 shown]
	s_waitcnt vmcnt(0) lgkmcnt(2)
	v_mul_f32_e32 v2, v163, v1
	v_fma_f32 v18, v162, v0, -v2
	global_load_dwordx2 v[2:3], v212, s[0:1] offset:3456
	v_mul_f32_e32 v19, v162, v1
	v_fmac_f32_e32 v19, v163, v0
	ds_read2_b64 v[162:165], v78 offset0:40 offset1:136
	s_waitcnt vmcnt(0) lgkmcnt(2)
	v_mul_f32_e32 v0, v175, v3
	v_mul_f32_e32 v1, v174, v3
	v_fma_f32 v0, v174, v2, -v0
	v_fmac_f32_e32 v1, v175, v2
	global_load_dwordx2 v[2:3], v[4:5], off offset:1088
	ds_read2_b64 v[172:175], v73 offset0:16 offset1:76
	s_waitcnt vmcnt(0) lgkmcnt(1)
	v_mul_f32_e32 v6, v165, v3
	v_fma_f32 v16, v164, v2, -v6
	global_load_dwordx2 v[6:7], v[4:5], off offset:2816
	v_mul_f32_e32 v17, v164, v3
	v_fmac_f32_e32 v17, v165, v2
	ds_read2_b64 v[164:167], v20 offset0:88 offset1:184
	s_waitcnt vmcnt(0)
	v_mul_f32_e32 v2, v157, v7
	v_mul_f32_e32 v3, v156, v7
	v_fma_f32 v2, v156, v6, -v2
	v_fmac_f32_e32 v3, v157, v6
	global_load_dwordx2 v[6:7], v[184:185], off offset:448
	s_waitcnt vmcnt(0) lgkmcnt(0)
	v_mul_f32_e32 v8, v167, v7
	v_mul_f32_e32 v13, v166, v7
	v_fma_f32 v12, v166, v6, -v8
	v_fmac_f32_e32 v13, v167, v6
	global_load_dwordx2 v[6:7], v[184:185], off offset:2176
	ds_read2_b64 v[166:169], v73 offset0:136 offset1:232
	s_waitcnt vmcnt(0)
	v_mul_f32_e32 v8, v173, v7
	v_mul_f32_e32 v9, v172, v7
	v_fma_f32 v8, v172, v6, -v8
	v_fmac_f32_e32 v9, v173, v6
	global_load_dwordx2 v[6:7], v[184:185], off offset:3904
	ds_read2_b64 v[170:173], v71 offset0:192 offset1:252
	s_waitcnt vmcnt(0) lgkmcnt(1)
	v_mul_f32_e32 v10, v169, v7
	v_mul_f32_e32 v11, v168, v7
	v_fma_f32 v10, v168, v6, -v10
	v_fmac_f32_e32 v11, v169, v6
	s_waitcnt lgkmcnt(0)
	v_mul_f32_e32 v6, v171, v15
	v_mul_f32_e32 v7, v170, v15
	v_fma_f32 v6, v170, v14, -v6
	v_fmac_f32_e32 v7, v171, v14
	ds_read2_b64 v[168:171], v85 offset0:56 offset1:152
	s_waitcnt lgkmcnt(0)
	v_mul_f32_e32 v14, v171, v23
	v_mul_f32_e32 v15, v170, v23
	v_fma_f32 v14, v170, v22, -v14
	v_fmac_f32_e32 v15, v171, v22
	global_load_dwordx2 v[22:23], v212, s[0:1] offset:480
	s_waitcnt vmcnt(0)
	v_mul_f32_e32 v21, v179, v23
	v_mul_f32_e32 v35, v178, v23
	v_fma_f32 v34, v178, v22, -v21
	v_fmac_f32_e32 v35, v179, v22
	ds_read2_b64 v[22:25], v220 offset0:20 offset1:80
	s_waitcnt lgkmcnt(0)
	v_mul_f32_e32 v21, v23, v27
	v_mul_f32_e32 v29, v22, v27
	v_fma_f32 v28, v22, v26, -v21
	v_fmac_f32_e32 v29, v23, v26
	ds_write2_b64 v222, v[18:19], v[28:29] offset0:88 offset1:148
	global_load_dwordx2 v[18:19], v212, s[0:1] offset:3936
	ds_read2_b64 v[26:29], v219 offset0:68 offset1:128
	s_waitcnt vmcnt(0)
	v_mul_f32_e32 v21, v177, v19
	v_mul_f32_e32 v23, v176, v19
	v_fma_f32 v22, v176, v18, -v21
	v_fmac_f32_e32 v23, v177, v18
	global_load_dwordx2 v[18:19], v[4:5], off offset:1568
	s_waitcnt vmcnt(0) lgkmcnt(0)
	v_mul_f32_e32 v21, v27, v19
	v_mul_f32_e32 v31, v26, v19
	v_fma_f32 v30, v26, v18, -v21
	v_fmac_f32_e32 v31, v27, v18
	ds_write2_b64 v78, v[16:17], v[30:31] offset0:136 offset1:196
	global_load_dwordx2 v[16:17], v[4:5], off offset:3296
	global_load_dwordx2 v[30:31], v[184:185], off offset:928
	s_waitcnt vmcnt(1)
	v_mul_f32_e32 v18, v159, v17
	v_mul_f32_e32 v27, v158, v17
	v_fma_f32 v26, v158, v16, -v18
	v_fmac_f32_e32 v27, v159, v16
	ds_read2_b64 v[16:19], v84 offset0:116 offset1:176
	ds_read2_b64 v[156:159], v70 offset0:84 offset1:144
	s_waitcnt vmcnt(0) lgkmcnt(1)
	v_mul_f32_e32 v21, v17, v31
	v_mul_f32_e32 v33, v16, v31
	v_fma_f32 v32, v16, v30, -v21
	v_fmac_f32_e32 v33, v17, v30
	ds_write2_b64 v84, v[12:13], v[32:33] offset0:56 offset1:116
	global_load_dwordx2 v[12:13], v[184:185], off offset:2656
	ds_read2_b64 v[30:33], v71 offset0:36 offset1:96
	s_waitcnt vmcnt(0)
	v_mul_f32_e32 v16, v175, v13
	v_mul_f32_e32 v17, v174, v13
	v_fma_f32 v16, v174, v12, -v16
	v_fmac_f32_e32 v17, v175, v12
	global_load_dwordx2 v[12:13], v[182:183], off offset:288
	s_waitcnt vmcnt(0) lgkmcnt(0)
	v_mul_f32_e32 v21, v31, v13
	v_mul_f32_e32 v37, v30, v13
	v_fma_f32 v36, v30, v12, -v21
	v_fmac_f32_e32 v37, v31, v12
	v_add_u32_e32 v12, 0x2c00, v216
	ds_write2_b64 v12, v[10:11], v[36:37] offset0:104 offset1:164
	global_load_dwordx2 v[10:11], v[182:183], off offset:2016
	s_waitcnt vmcnt(0)
	v_mul_f32_e32 v12, v173, v11
	v_mul_f32_e32 v13, v172, v11
	v_fma_f32 v12, v172, v10, -v12
	v_fmac_f32_e32 v13, v173, v10
	global_load_dwordx2 v[10:11], v[182:183], off offset:3744
	s_waitcnt vmcnt(0)
	v_mul_f32_e32 v21, v157, v11
	v_mul_f32_e32 v31, v156, v11
	v_fma_f32 v30, v156, v10, -v21
	v_fmac_f32_e32 v31, v157, v10
	global_load_dwordx2 v[10:11], v212, s[0:1] offset:960
	ds_write2_b64 v85, v[14:15], v[30:31] offset0:152 offset1:212
	s_waitcnt vmcnt(0)
	v_mul_f32_e32 v14, v161, v11
	v_mul_f32_e32 v15, v160, v11
	v_fma_f32 v14, v160, v10, -v14
	v_fmac_f32_e32 v15, v161, v10
	global_load_dwordx2 v[10:11], v212, s[0:1] offset:2688
	ds_write2_b64 v216, v[34:35], v[14:15] offset0:60 offset1:120
	s_waitcnt vmcnt(0)
	v_mul_f32_e32 v14, v25, v11
	v_mul_f32_e32 v15, v24, v11
	v_fma_f32 v14, v24, v10, -v14
	v_fmac_f32_e32 v15, v25, v10
	ds_write2_b64 v220, v[14:15], v[0:1] offset0:80 offset1:176
	global_load_dwordx2 v[0:1], v[4:5], off offset:320
	s_waitcnt vmcnt(0)
	v_mul_f32_e32 v10, v163, v1
	v_mul_f32_e32 v11, v162, v1
	v_fma_f32 v10, v162, v0, -v10
	v_fmac_f32_e32 v11, v163, v0
	global_load_dwordx2 v[0:1], v214, s[0:1]
	ds_write2_b64 v221, v[22:23], v[10:11] offset0:108 offset1:168
	s_waitcnt vmcnt(0)
	v_mul_f32_e32 v10, v29, v1
	v_mul_f32_e32 v11, v28, v1
	v_fma_f32 v10, v28, v0, -v10
	v_fmac_f32_e32 v11, v29, v0
	global_load_dwordx2 v[0:1], v[4:5], off offset:3776
	ds_write2_b64 v79, v[10:11], v[2:3] offset1:96
	s_waitcnt vmcnt(0)
	v_mul_f32_e32 v2, v165, v1
	v_mul_f32_e32 v3, v164, v1
	v_fma_f32 v2, v164, v0, -v2
	v_fmac_f32_e32 v3, v165, v0
	global_load_dwordx2 v[0:1], v[184:185], off offset:1408
	ds_write2_b64 v79, v[26:27], v[2:3] offset0:156 offset1:216
	s_waitcnt vmcnt(0)
	v_mul_f32_e32 v2, v19, v1
	v_mul_f32_e32 v3, v18, v1
	v_fma_f32 v2, v18, v0, -v2
	v_fmac_f32_e32 v3, v19, v0
	v_add_u32_e32 v0, 0x2400, v216
	ds_write2_b64 v0, v[2:3], v[8:9] offset0:48 offset1:144
	global_load_dwordx2 v[0:1], v[184:185], off offset:3136
	s_waitcnt vmcnt(0)
	v_mul_f32_e32 v2, v167, v1
	v_mul_f32_e32 v3, v166, v1
	v_fma_f32 v2, v166, v0, -v2
	v_fmac_f32_e32 v3, v167, v0
	global_load_dwordx2 v[0:1], v[182:183], off offset:768
	ds_write2_b64 v73, v[16:17], v[2:3] offset0:76 offset1:136
	s_waitcnt vmcnt(0)
	v_mul_f32_e32 v2, v33, v1
	v_mul_f32_e32 v3, v32, v1
	v_fma_f32 v2, v32, v0, -v2
	v_fmac_f32_e32 v3, v33, v0
	global_load_dwordx2 v[0:1], v[182:183], off offset:2496
	ds_write2_b64 v71, v[2:3], v[6:7] offset0:96 offset1:192
	s_waitcnt vmcnt(0)
	v_mul_f32_e32 v2, v169, v1
	v_mul_f32_e32 v3, v168, v1
	v_fma_f32 v2, v168, v0, -v2
	v_fmac_f32_e32 v3, v169, v0
	v_add_u32_e32 v0, 0x3400, v216
	ds_write2_b64 v0, v[12:13], v[2:3] offset0:124 offset1:184
	v_add_co_u32_e32 v0, vcc, 0x4000, v180
	s_nop 1
	v_addc_co_u32_e32 v1, vcc, 0, v181, vcc
	global_load_dwordx2 v[0:1], v[0:1], off offset:128
	s_waitcnt vmcnt(0)
	v_mul_f32_e32 v2, v159, v1
	v_mul_f32_e32 v3, v158, v1
	v_fma_f32 v2, v158, v0, -v2
	v_fmac_f32_e32 v3, v159, v0
	ds_write_b64 v216, v[2:3] offset:16512
	s_and_saveexec_b64 s[0:1], s[2:3]
	s_cbranch_execz .LBB0_9
; %bb.8:
	global_load_dwordx2 v[6:7], v[180:181], off offset:1440
	v_add_u32_e32 v10, 0x500, v216
	ds_read2_b64 v[0:3], v10 offset0:20 offset1:236
	s_waitcnt vmcnt(0) lgkmcnt(0)
	v_mul_f32_e32 v8, v1, v7
	v_mul_f32_e32 v9, v0, v7
	v_fma_f32 v8, v0, v6, -v8
	v_fmac_f32_e32 v9, v1, v6
	global_load_dwordx2 v[0:1], v[180:181], off offset:3168
	s_waitcnt vmcnt(0)
	v_mul_f32_e32 v6, v3, v1
	v_mul_f32_e32 v7, v2, v1
	v_fma_f32 v6, v2, v0, -v6
	v_fmac_f32_e32 v7, v3, v0
	ds_write2_b64 v10, v[8:9], v[6:7] offset0:20 offset1:236
	global_load_dwordx2 v[6:7], v[4:5], off offset:800
	v_add_u32_e32 v10, 0x1200, v216
	ds_read2_b64 v[0:3], v10 offset0:36 offset1:252
	s_waitcnt vmcnt(0) lgkmcnt(0)
	v_mul_f32_e32 v8, v1, v7
	v_mul_f32_e32 v9, v0, v7
	v_fma_f32 v8, v0, v6, -v8
	v_fmac_f32_e32 v9, v1, v6
	global_load_dwordx2 v[0:1], v[4:5], off offset:2528
	s_waitcnt vmcnt(0)
	v_mul_f32_e32 v4, v3, v1
	v_mul_f32_e32 v5, v2, v1
	v_fma_f32 v4, v2, v0, -v4
	v_fmac_f32_e32 v5, v3, v0
	ds_write2_b64 v10, v[8:9], v[4:5] offset0:36 offset1:252
	global_load_dwordx2 v[4:5], v[184:185], off offset:160
	ds_read2_b64 v[0:3], v84 offset0:20 offset1:236
	v_add_u32_e32 v8, 0x2e00, v216
	s_waitcnt vmcnt(0) lgkmcnt(0)
	v_mul_f32_e32 v6, v1, v5
	v_mul_f32_e32 v7, v0, v5
	v_fma_f32 v6, v0, v4, -v6
	v_fmac_f32_e32 v7, v1, v4
	global_load_dwordx2 v[0:1], v[184:185], off offset:1888
	s_waitcnt vmcnt(0)
	v_mul_f32_e32 v4, v3, v1
	v_mul_f32_e32 v5, v2, v1
	v_fma_f32 v4, v2, v0, -v4
	v_fmac_f32_e32 v5, v3, v0
	ds_write2_b64 v84, v[6:7], v[4:5] offset0:20 offset1:236
	global_load_dwordx2 v[4:5], v[184:185], off offset:3616
	ds_read2_b64 v[0:3], v8 offset0:4 offset1:220
	s_waitcnt vmcnt(0) lgkmcnt(0)
	v_mul_f32_e32 v6, v1, v5
	v_mul_f32_e32 v7, v0, v5
	v_fma_f32 v6, v0, v4, -v6
	v_fmac_f32_e32 v7, v1, v4
	global_load_dwordx2 v[0:1], v[182:183], off offset:1248
	s_waitcnt vmcnt(0)
	v_mul_f32_e32 v4, v3, v1
	v_mul_f32_e32 v5, v2, v1
	v_fma_f32 v4, v2, v0, -v4
	v_fmac_f32_e32 v5, v3, v0
	ds_write2_b64 v8, v[6:7], v[4:5] offset0:4 offset1:220
	global_load_dwordx2 v[4:5], v[182:183], off offset:2976
	v_add_u32_e32 v8, 0x3b00, v216
	ds_read2_b64 v[0:3], v8 offset0:20 offset1:236
	s_waitcnt vmcnt(0) lgkmcnt(0)
	v_mul_f32_e32 v6, v1, v5
	v_fma_f32 v6, v0, v4, -v6
	v_mul_f32_e32 v7, v0, v5
	v_add_co_u32_e32 v0, vcc, 0x4000, v180
	v_fmac_f32_e32 v7, v1, v4
	s_nop 0
	v_addc_co_u32_e32 v1, vcc, 0, v181, vcc
	global_load_dwordx2 v[0:1], v[0:1], off offset:608
	s_waitcnt vmcnt(0)
	v_mul_f32_e32 v4, v3, v1
	v_mul_f32_e32 v5, v2, v1
	v_fma_f32 v4, v2, v0, -v4
	v_fmac_f32_e32 v5, v3, v0
	ds_write2_b64 v8, v[6:7], v[4:5] offset0:20 offset1:236
.LBB0_9:
	s_or_b64 exec, exec, s[0:1]
	s_waitcnt lgkmcnt(0)
	; wave barrier
	s_waitcnt lgkmcnt(0)
	ds_read2_b64 v[196:199], v216 offset1:60
	ds_read2_b64 v[156:159], v216 offset0:120 offset1:216
	ds_read2_b64 v[200:203], v220 offset0:176 offset1:236
	;; [unrolled: 1-line block ×14, first 2 shown]
	s_and_saveexec_b64 s[0:1], s[2:3]
	s_cbranch_execz .LBB0_11
; %bb.10:
	v_add_u32_e32 v0, 0x500, v216
	ds_read2_b64 a[206:209], v0 offset0:20 offset1:236
	v_add_u32_e32 v0, 0x1200, v216
	ds_read2_b64 a[214:217], v0 offset0:36 offset1:252
	;; [unrolled: 2-line block ×5, first 2 shown]
.LBB0_11:
	s_or_b64 exec, exec, s[0:1]
	s_waitcnt lgkmcnt(8)
	v_pk_add_f32 v[0:1], v[212:213], v[204:205]
	s_mov_b32 s9, 0x3f737871
	s_mov_b32 s12, 0x3e9e377a
	v_pk_fma_f32 v[2:3], v[0:1], 0.5, v[196:197] op_sel_hi:[1,0,1] neg_lo:[1,0,0] neg_hi:[1,0,0]
	s_waitcnt lgkmcnt(6)
	v_pk_add_f32 v[0:1], v[200:201], v[208:209] neg_lo:[0,1] neg_hi:[0,1]
	s_mov_b32 s0, s9
	s_mov_b32 s13, 0x3f167918
	v_pk_mul_f32 v[4:5], v[0:1], s[0:1] op_sel_hi:[1,0]
	v_pk_add_f32 v[6:7], v[200:201], v[212:213] neg_lo:[0,1] neg_hi:[0,1]
	v_pk_add_f32 v[8:9], v[208:209], v[204:205] neg_lo:[0,1] neg_hi:[0,1]
	;; [unrolled: 1-line block ×3, first 2 shown]
	s_mov_b32 s22, s13
	v_pk_add_f32 v[6:7], v[6:7], v[8:9]
	v_pk_add_f32 v[8:9], v[2:3], v[4:5] op_sel:[0,1] op_sel_hi:[1,0] neg_lo:[0,1] neg_hi:[0,1]
	v_pk_add_f32 v[2:3], v[2:3], v[4:5] op_sel:[0,1] op_sel_hi:[1,0]
	v_pk_mul_f32 v[4:5], v[10:11], s[22:23] op_sel_hi:[1,0]
	s_waitcnt lgkmcnt(5)
	v_pk_add_f32 v[16:17], v[162:163], v[170:171] neg_lo:[0,1] neg_hi:[0,1]
	v_pk_add_f32 v[12:13], v[2:3], v[4:5] op_sel:[0,1] op_sel_hi:[1,0]
	v_pk_add_f32 v[8:9], v[8:9], v[4:5] op_sel:[0,1] op_sel_hi:[1,0] neg_lo:[0,1] neg_hi:[0,1]
	v_pk_add_f32 v[2:3], v[162:163], v[174:175] neg_lo:[0,1] neg_hi:[0,1]
	v_pk_add_f32 v[4:5], v[170:171], v[166:167] neg_lo:[0,1] neg_hi:[0,1]
	;; [unrolled: 1-line block ×3, first 2 shown]
	v_pk_add_f32 v[14:15], v[2:3], v[4:5]
	v_pk_add_f32 v[2:3], v[174:175], v[166:167]
	v_pk_mul_f32 v[4:5], v[16:17], s[0:1] op_sel_hi:[1,0]
	v_pk_fma_f32 v[2:3], v[2:3], 0.5, v[158:159] op_sel_hi:[1,0,1] neg_lo:[1,0,0] neg_hi:[1,0,0]
	s_mov_b32 s14, 0x3f4f1bbd
	v_pk_add_f32 v[18:19], v[2:3], v[4:5] op_sel:[0,1] op_sel_hi:[1,0]
	v_pk_add_f32 v[2:3], v[2:3], v[4:5] op_sel:[0,1] op_sel_hi:[1,0] neg_lo:[0,1] neg_hi:[0,1]
	v_pk_mul_f32 v[4:5], v[20:21], s[22:23] op_sel_hi:[1,0]
	s_waitcnt lgkmcnt(0)
	v_pk_add_f32 v[18:19], v[4:5], v[18:19] op_sel:[1,0] op_sel_hi:[0,1]
	v_pk_add_f32 v[22:23], v[2:3], v[4:5] op_sel:[0,1] op_sel_hi:[1,0] neg_lo:[0,1] neg_hi:[0,1]
	v_pk_fma_f32 v[24:25], v[14:15], s[12:13], v[18:19] op_sel_hi:[1,0,1]
	v_mov_b32_e32 v18, v22
	v_pk_fma_f32 v[2:3], v[14:15], s[12:13], v[18:19] op_sel_hi:[1,0,1]
	; wave barrier
	s_nop 0
	v_pk_mul_f32 v[4:5], v[2:3], s[22:23] op_sel_hi:[1,0]
	v_mov_b32_e32 v32, v163
	v_pk_fma_f32 v[18:19], v[2:3], s[14:15], v[4:5] op_sel:[0,0,1] op_sel_hi:[1,0,0] neg_lo:[0,0,1] neg_hi:[0,0,1]
	v_pk_fma_f32 v[2:3], v[2:3], s[14:15], v[4:5] op_sel:[0,0,1] op_sel_hi:[1,0,0]
	v_mov_b32_e32 v33, v171
	v_mov_b32_e32 v19, v3
	v_pk_add_f32 v[2:3], v[196:197], v[200:201]
	v_pk_mul_f32 v[10:11], v[10:11], s[0:1] op_sel_hi:[1,0]
	v_pk_add_f32 v[2:3], v[2:3], v[212:213]
	v_pk_mul_f32 v[0:1], v[0:1], s[22:23] op_sel_hi:[1,0]
	v_pk_add_f32 v[2:3], v[2:3], v[204:205]
	s_mov_b32 s16, s9
	v_pk_add_f32 v[26:27], v[2:3], v[208:209]
	v_pk_add_f32 v[2:3], v[158:159], v[162:163]
	s_mov_b32 s17, s12
	v_pk_add_f32 v[2:3], v[2:3], v[174:175]
	s_mov_b32 s8, s12
	v_pk_add_f32 v[2:3], v[2:3], v[166:167]
	s_mov_b32 s18, 0xbe9e377a
	v_pk_add_f32 v[28:29], v[2:3], v[170:171]
	v_mov_b32_e32 v2, v8
	v_mov_b32_e32 v3, v13
	v_pk_fma_f32 v[30:31], v[6:7], s[12:13], v[2:3] op_sel_hi:[1,0,1]
	v_pk_add_f32 v[2:3], v[26:27], v[28:29]
	v_pk_add_f32 v[4:5], v[30:31], v[18:19]
	ds_write_b128 v218, v[2:5]
	v_mov_b32_e32 v2, v174
	v_mov_b32_e32 v3, v166
	v_mov_b32_e32 v4, v162
	v_mov_b32_e32 v5, v170
	v_pk_add_f32 v[2:3], v[2:3], v[4:5] neg_lo:[0,1] neg_hi:[0,1]
	s_mov_b32 s19, s9
	v_mov_b32_e32 v4, v3
	v_pk_add_f32 v[2:3], v[2:3], v[4:5]
	v_mov_b32_e32 v4, v175
	v_mov_b32_e32 v5, v167
	v_pk_add_f32 v[4:5], v[4:5], v[32:33] neg_lo:[0,1] neg_hi:[0,1]
	v_mov_b32_e32 v3, v17
	v_mov_b32_e32 v8, v5
	v_pk_add_f32 v[4:5], v[4:5], v[8:9]
	v_pk_mul_f32 v[2:3], v[2:3], s[12:13]
	v_mov_b32_e32 v5, v16
	v_pk_add_f32 v[16:17], v[162:163], v[170:171]
	v_pk_mul_f32 v[4:5], v[4:5], s[12:13]
	v_fma_f32 v13, -0.5, v16, v158
	v_fma_f32 v34, -0.5, v17, v159
	v_fmamk_f32 v8, v21, 0x3f737871, v13
	v_fmac_f32_e32 v13, 0xbf737871, v21
	v_fmamk_f32 v35, v20, 0xbf737871, v34
	v_fmac_f32_e32 v34, 0x3f737871, v20
	v_pk_add_f32 v[16:17], v[212:213], v[200:201] neg_lo:[0,1] neg_hi:[0,1]
	v_pk_add_f32 v[20:21], v[204:205], v[208:209] neg_lo:[0,1] neg_hi:[0,1]
	s_mov_b32 s24, s13
	v_pk_add_f32 v[16:17], v[16:17], v[20:21]
	v_pk_add_f32 v[20:21], v[200:201], v[208:209]
	s_mov_b32 s25, s14
	v_pk_fma_f32 v[20:21], v[20:21], 0.5, v[196:197] op_sel_hi:[1,0,1] neg_lo:[1,0,0] neg_hi:[1,0,0]
	s_mov_b32 s20, 0xbf4f1bbd
	v_pk_add_f32 v[32:33], v[20:21], v[10:11] op_sel:[0,1] op_sel_hi:[1,0]
	v_pk_add_f32 v[10:11], v[20:21], v[10:11] op_sel:[0,1] op_sel_hi:[1,0] neg_lo:[0,1] neg_hi:[0,1]
	s_mov_b32 s21, s13
	v_pk_add_f32 v[10:11], v[10:11], v[0:1] op_sel:[0,1] op_sel_hi:[1,0]
	v_pk_add_f32 v[0:1], v[32:33], v[0:1] op_sel:[0,1] op_sel_hi:[1,0] neg_lo:[0,1] neg_hi:[0,1]
	v_sub_f32_e32 v32, v8, v3
	v_add_f32_e32 v8, v5, v35
	v_add_f32_e32 v8, v4, v8
	;; [unrolled: 1-line block ×3, first 2 shown]
	v_pk_mul_f32 v[20:21], v[8:9], s[16:17] op_sel_hi:[0,1]
	v_add_f32_e32 v8, v2, v32
	v_add_f32_e32 v2, v2, v3
	v_sub_f32_e32 v3, v34, v5
	v_add_f32_e32 v4, v4, v3
	v_pk_mul_f32 v[4:5], v[4:5], s[16:17] op_sel_hi:[0,1]
	v_pk_fma_f32 v[32:33], v[8:9], s[8:9], v[20:21] neg_lo:[0,0,1] neg_hi:[0,0,1]
	v_pk_fma_f32 v[20:21], v[8:9], s[8:9], v[20:21] op_sel_hi:[0,1,1]
	v_pk_fma_f32 v[4:5], v[2:3], s[18:19], v[4:5] op_sel_hi:[0,1,1] neg_lo:[0,0,1] neg_hi:[0,0,1]
	v_mov_b32_e32 v2, v0
	v_mov_b32_e32 v3, v11
	;; [unrolled: 1-line block ×4, first 2 shown]
	v_pk_fma_f32 v[20:21], v[16:17], s[12:13], v[2:3] op_sel_hi:[1,0,1]
	v_pk_fma_f32 v[10:11], v[16:17], s[12:13], v[10:11] op_sel_hi:[1,0,1]
	v_pk_add_f32 v[0:1], v[20:21], v[32:33]
	v_pk_add_f32 v[2:3], v[10:11], v[4:5]
	ds_write_b128 v218, v[0:3] offset:16
	v_pk_fma_f32 v[0:1], v[14:15], s[12:13], v[22:23] op_sel_hi:[1,0,1]
	v_mov_b32_e32 v13, v9
	v_pk_mul_f32 v[0:1], v[0:1], s[24:25] op_sel:[1,0]
	v_pk_fma_f32 v[6:7], v[6:7], s[12:13], v[12:13] op_sel_hi:[1,0,1]
	v_pk_fma_f32 v[8:9], v[24:25], s[20:21], v[0:1] op_sel_hi:[0,1,1] neg_lo:[0,0,1] neg_hi:[0,0,1]
	v_pk_add_f32 v[2:3], v[26:27], v[28:29] neg_lo:[0,1] neg_hi:[0,1]
	v_pk_add_f32 v[0:1], v[6:7], v[8:9]
	ds_write_b128 v218, v[0:3] offset:32
	v_pk_add_f32 v[0:1], v[30:31], v[18:19] neg_lo:[0,1] neg_hi:[0,1]
	v_pk_add_f32 v[2:3], v[20:21], v[32:33] neg_lo:[0,1] neg_hi:[0,1]
	ds_write_b128 v218, v[0:3] offset:48
	v_pk_add_f32 v[0:1], v[10:11], v[4:5] neg_lo:[0,1] neg_hi:[0,1]
	v_pk_add_f32 v[2:3], v[6:7], v[8:9] neg_lo:[0,1] neg_hi:[0,1]
	ds_write_b128 v218, v[0:3] offset:64
	v_pk_add_f32 v[0:1], v[214:215], v[206:207]
	v_pk_add_f32 v[4:5], v[202:203], v[210:211] neg_lo:[0,1] neg_hi:[0,1]
	v_pk_fma_f32 v[0:1], v[0:1], 0.5, v[198:199] op_sel_hi:[1,0,1] neg_lo:[1,0,0] neg_hi:[1,0,0]
	v_pk_mul_f32 v[2:3], v[4:5], s[0:1] op_sel_hi:[1,0]
	v_pk_add_f32 v[6:7], v[214:215], v[206:207] neg_lo:[0,1] neg_hi:[0,1]
	v_pk_add_f32 v[8:9], v[202:203], v[214:215] neg_lo:[0,1] neg_hi:[0,1]
	v_pk_add_f32 v[10:11], v[210:211], v[206:207] neg_lo:[0,1] neg_hi:[0,1]
	v_pk_add_f32 v[20:21], v[180:181], v[192:193] neg_lo:[0,1] neg_hi:[0,1]
	v_pk_add_f32 v[10:11], v[8:9], v[10:11]
	v_pk_add_f32 v[8:9], v[0:1], v[2:3] op_sel:[0,1] op_sel_hi:[1,0] neg_lo:[0,1] neg_hi:[0,1]
	v_pk_add_f32 v[0:1], v[0:1], v[2:3] op_sel:[0,1] op_sel_hi:[1,0]
	v_pk_mul_f32 v[2:3], v[6:7], s[22:23] op_sel_hi:[1,0]
	v_pk_add_f32 v[24:25], v[180:181], v[184:185] neg_lo:[0,1] neg_hi:[0,1]
	v_pk_add_f32 v[12:13], v[0:1], v[2:3] op_sel:[0,1] op_sel_hi:[1,0]
	v_pk_add_f32 v[0:1], v[198:199], v[202:203]
	v_pk_add_f32 v[8:9], v[8:9], v[2:3] op_sel:[0,1] op_sel_hi:[1,0] neg_lo:[0,1] neg_hi:[0,1]
	v_pk_add_f32 v[0:1], v[0:1], v[214:215]
	v_pk_mul_f32 v[2:3], v[20:21], s[0:1] op_sel_hi:[1,0]
	v_pk_add_f32 v[0:1], v[0:1], v[206:207]
	v_pk_add_f32 v[26:27], v[192:193], v[188:189] neg_lo:[0,1] neg_hi:[0,1]
	v_pk_add_f32 v[14:15], v[0:1], v[210:211]
	v_pk_add_f32 v[0:1], v[184:185], v[188:189]
	v_pk_add_f32 v[28:29], v[184:185], v[188:189] neg_lo:[0,1] neg_hi:[0,1]
	v_pk_fma_f32 v[0:1], v[0:1], 0.5, v[176:177] op_sel_hi:[1,0,1] neg_lo:[1,0,0] neg_hi:[1,0,0]
	v_pk_add_f32 v[24:25], v[24:25], v[26:27]
	v_pk_add_f32 v[26:27], v[0:1], v[2:3] op_sel:[0,1] op_sel_hi:[1,0]
	v_pk_add_f32 v[0:1], v[0:1], v[2:3] op_sel:[0,1] op_sel_hi:[1,0] neg_lo:[0,1] neg_hi:[0,1]
	v_pk_mul_f32 v[2:3], v[28:29], s[22:23] op_sel_hi:[1,0]
	v_pk_add_f32 v[18:19], v[202:203], v[210:211]
	v_pk_add_f32 v[26:27], v[2:3], v[26:27] op_sel:[1,0] op_sel_hi:[0,1]
	v_pk_add_f32 v[30:31], v[0:1], v[2:3] op_sel:[0,1] op_sel_hi:[1,0] neg_lo:[0,1] neg_hi:[0,1]
	v_pk_fma_f32 v[32:33], v[24:25], s[12:13], v[26:27] op_sel_hi:[1,0,1]
	v_mov_b32_e32 v26, v30
	v_pk_fma_f32 v[0:1], v[24:25], s[12:13], v[26:27] op_sel_hi:[1,0,1]
	v_mov_b32_e32 v38, v181
	v_pk_mul_f32 v[2:3], v[0:1], s[22:23] op_sel_hi:[1,0]
	v_mov_b32_e32 v39, v193
	v_pk_fma_f32 v[26:27], v[0:1], s[14:15], v[2:3] op_sel:[0,0,1] op_sel_hi:[1,0,0] neg_lo:[0,0,1] neg_hi:[0,0,1]
	v_pk_fma_f32 v[0:1], v[0:1], s[14:15], v[2:3] op_sel:[0,0,1] op_sel_hi:[1,0,0]
	v_pk_mul_f32 v[6:7], v[6:7], s[0:1] op_sel_hi:[1,0]
	v_mov_b32_e32 v27, v1
	v_pk_add_f32 v[0:1], v[176:177], v[180:181]
	v_pk_mul_f32 v[4:5], v[4:5], s[22:23] op_sel_hi:[1,0]
	v_pk_add_f32 v[0:1], v[0:1], v[184:185]
	v_pk_add_f32 v[16:17], v[214:215], v[202:203] neg_lo:[0,1] neg_hi:[0,1]
	v_pk_add_f32 v[0:1], v[0:1], v[188:189]
	v_pk_add_f32 v[22:23], v[206:207], v[210:211] neg_lo:[0,1] neg_hi:[0,1]
	v_pk_add_f32 v[34:35], v[0:1], v[192:193]
	v_mov_b32_e32 v0, v8
	v_mov_b32_e32 v1, v13
	v_pk_fma_f32 v[36:37], v[10:11], s[12:13], v[0:1] op_sel_hi:[1,0,1]
	v_pk_add_f32 v[0:1], v[14:15], v[34:35]
	v_pk_add_f32 v[2:3], v[36:37], v[26:27]
	ds_write_b128 v72, v[0:3]
	v_pk_fma_f32 v[0:1], v[18:19], 0.5, v[198:199] op_sel_hi:[1,0,1] neg_lo:[1,0,0] neg_hi:[1,0,0]
	v_mov_b32_e32 v2, v184
	v_mov_b32_e32 v3, v188
	;; [unrolled: 1-line block ×4, first 2 shown]
	v_pk_add_f32 v[2:3], v[2:3], v[18:19] neg_lo:[0,1] neg_hi:[0,1]
	v_mov_b32_e32 v18, v185
	v_mov_b32_e32 v19, v189
	;; [unrolled: 1-line block ×3, first 2 shown]
	v_pk_add_f32 v[18:19], v[18:19], v[38:39] neg_lo:[0,1] neg_hi:[0,1]
	v_pk_add_f32 v[2:3], v[2:3], v[8:9]
	v_mov_b32_e32 v8, v19
	v_pk_add_f32 v[18:19], v[18:19], v[8:9]
	v_mov_b32_e32 v3, v21
	v_mov_b32_e32 v19, v20
	v_pk_add_f32 v[20:21], v[180:181], v[192:193]
	v_pk_mul_f32 v[2:3], v[2:3], s[12:13]
	v_fma_f32 v13, -0.5, v20, v176
	v_fma_f32 v38, -0.5, v21, v177
	v_fmamk_f32 v8, v29, 0x3f737871, v13
	v_fmac_f32_e32 v13, 0xbf737871, v29
	v_fmamk_f32 v29, v28, 0xbf737871, v38
	v_pk_add_f32 v[20:21], v[0:1], v[6:7] op_sel:[0,1] op_sel_hi:[1,0]
	v_pk_add_f32 v[0:1], v[0:1], v[6:7] op_sel:[0,1] op_sel_hi:[1,0] neg_lo:[0,1] neg_hi:[0,1]
	v_pk_mul_f32 v[6:7], v[18:19], s[12:13]
	v_pk_add_f32 v[0:1], v[0:1], v[4:5] op_sel:[0,1] op_sel_hi:[1,0]
	v_pk_add_f32 v[4:5], v[20:21], v[4:5] op_sel:[0,1] op_sel_hi:[1,0] neg_lo:[0,1] neg_hi:[0,1]
	v_sub_f32_e32 v20, v8, v3
	v_add_f32_e32 v8, v7, v29
	v_fmac_f32_e32 v38, 0x3f737871, v28
	v_add_f32_e32 v8, v6, v8
	v_add_f32_e32 v3, v3, v13
	v_pk_mul_f32 v[18:19], v[8:9], s[16:17] op_sel_hi:[0,1]
	v_add_f32_e32 v8, v2, v20
	v_add_f32_e32 v2, v2, v3
	v_sub_f32_e32 v3, v38, v7
	v_add_f32_e32 v6, v6, v3
	v_pk_fma_f32 v[20:21], v[8:9], s[8:9], v[18:19] neg_lo:[0,0,1] neg_hi:[0,0,1]
	v_pk_fma_f32 v[18:19], v[8:9], s[8:9], v[18:19] op_sel_hi:[0,1,1]
	v_pk_mul_f32 v[6:7], v[6:7], s[16:17] op_sel_hi:[0,1]
	v_pk_add_f32 v[16:17], v[16:17], v[22:23]
	v_mov_b32_e32 v21, v19
	v_pk_fma_f32 v[18:19], v[2:3], s[18:19], v[6:7] op_sel_hi:[0,1,1] neg_lo:[0,0,1] neg_hi:[0,0,1]
	v_mov_b32_e32 v2, v4
	v_mov_b32_e32 v3, v1
	;; [unrolled: 1-line block ×3, first 2 shown]
	v_pk_fma_f32 v[4:5], v[24:25], s[12:13], v[30:31] op_sel_hi:[1,0,1]
	v_pk_fma_f32 v[22:23], v[16:17], s[12:13], v[2:3] op_sel_hi:[1,0,1]
	;; [unrolled: 1-line block ×3, first 2 shown]
	v_mov_b32_e32 v13, v9
	v_pk_mul_f32 v[4:5], v[4:5], s[24:25] op_sel:[1,0]
	v_pk_add_f32 v[0:1], v[22:23], v[20:21]
	v_pk_add_f32 v[2:3], v[28:29], v[18:19]
	v_pk_fma_f32 v[24:25], v[10:11], s[12:13], v[12:13] op_sel_hi:[1,0,1]
	v_pk_fma_f32 v[30:31], v[32:33], s[20:21], v[4:5] op_sel_hi:[0,1,1] neg_lo:[0,0,1] neg_hi:[0,0,1]
	ds_write_b128 v72, v[0:3] offset:16
	v_accvgpr_read_b32 v0, a128
	v_pk_add_f32 v[6:7], v[14:15], v[34:35] neg_lo:[0,1] neg_hi:[0,1]
	v_pk_add_f32 v[4:5], v[24:25], v[30:31]
	v_accvgpr_read_b32 v1, a129
	v_accvgpr_read_b32 v2, a130
	v_accvgpr_read_b32 v3, a131
	v_accvgpr_read_b32 v38, a104
	ds_write_b128 v72, v[4:7] offset:32
	v_pk_add_f32 v[4:5], v[36:37], v[26:27] neg_lo:[0,1] neg_hi:[0,1]
	v_pk_add_f32 v[6:7], v[22:23], v[20:21] neg_lo:[0,1] neg_hi:[0,1]
	v_mov_b32_e32 v144, v0
	v_mov_b32_e32 v145, v0
	;; [unrolled: 1-line block ×6, first 2 shown]
	v_accvgpr_write_b32 a173, v3
	v_accvgpr_read_b32 v39, a105
	v_accvgpr_read_b32 v40, a106
	v_accvgpr_read_b32 v41, a107
	v_pk_add_f32 v[20:21], v[178:179], v[182:183]
	ds_write_b128 v72, v[4:7] offset:48
	v_pk_add_f32 v[4:5], v[28:29], v[18:19] neg_lo:[0,1] neg_hi:[0,1]
	v_pk_add_f32 v[6:7], v[24:25], v[30:31] neg_lo:[0,1] neg_hi:[0,1]
	v_accvgpr_write_b32 a172, v2
	v_accvgpr_write_b32 a171, v1
	;; [unrolled: 1-line block ×3, first 2 shown]
	v_mov_b32_e32 v0, v38
	v_mov_b32_e32 v1, v38
	;; [unrolled: 1-line block ×6, first 2 shown]
	v_accvgpr_write_b32 a169, v41
	ds_write_b128 v72, v[4:7] offset:64
	v_pk_add_f32 v[4:5], v[20:21], v[186:187]
	v_pk_add_f32 v[6:7], v[186:187], v[190:191]
	;; [unrolled: 1-line block ×3, first 2 shown]
	v_pk_add_f32 v[44:45], v[160:161], v[168:169] neg_lo:[0,1] neg_hi:[0,1]
	v_accvgpr_write_b32 a168, v40
	v_accvgpr_write_b32 a167, v39
	;; [unrolled: 1-line block ×3, first 2 shown]
	v_pk_fma_f32 v[20:21], v[20:21], 0.5, v[156:157] op_sel_hi:[1,0,1] neg_lo:[1,0,0] neg_hi:[1,0,0]
	v_pk_mul_f32 v[26:27], v[44:45], s[0:1] op_sel_hi:[1,0]
	v_pk_add_f32 v[46:47], v[172:173], v[164:165] neg_lo:[0,1] neg_hi:[0,1]
	v_pk_fma_f32 v[40:41], v[6:7], 0.5, v[178:179] op_sel_hi:[1,0,1] neg_lo:[1,0,0] neg_hi:[1,0,0]
	v_pk_add_f32 v[6:7], v[160:161], v[172:173] neg_lo:[0,1] neg_hi:[0,1]
	v_pk_add_f32 v[34:35], v[168:169], v[164:165] neg_lo:[0,1] neg_hi:[0,1]
	v_pk_add_f32 v[22:23], v[182:183], v[194:195]
	v_pk_add_f32 v[38:39], v[182:183], v[194:195] neg_lo:[0,1] neg_hi:[0,1]
	v_pk_add_f32 v[6:7], v[6:7], v[34:35]
	v_pk_add_f32 v[34:35], v[20:21], v[26:27] op_sel:[0,1] op_sel_hi:[1,0] neg_lo:[0,1] neg_hi:[0,1]
	v_pk_add_f32 v[20:21], v[20:21], v[26:27] op_sel:[0,1] op_sel_hi:[1,0]
	v_pk_mul_f32 v[26:27], v[46:47], s[22:23] op_sel_hi:[1,0]
	v_fma_f32 v57, -0.5, v22, v178
	v_fma_f32 v59, -0.5, v23, v179
	v_pk_add_f32 v[18:19], v[182:183], v[186:187] neg_lo:[0,1] neg_hi:[0,1]
	v_pk_add_f32 v[42:43], v[186:187], v[190:191] neg_lo:[0,1] neg_hi:[0,1]
	;; [unrolled: 1-line block ×3, first 2 shown]
	v_pk_add_f32 v[36:37], v[20:21], v[26:27] op_sel:[0,1] op_sel_hi:[1,0]
	v_pk_mul_f32 v[20:21], v[38:39], s[0:1] op_sel_hi:[1,0]
	v_pk_add_f32 v[52:53], v[18:19], v[22:23]
	v_pk_add_f32 v[18:19], v[40:41], v[20:21] op_sel:[0,1] op_sel_hi:[1,0]
	v_pk_add_f32 v[20:21], v[40:41], v[20:21] op_sel:[0,1] op_sel_hi:[1,0] neg_lo:[0,1] neg_hi:[0,1]
	v_pk_mul_f32 v[22:23], v[42:43], s[22:23] op_sel_hi:[1,0]
	v_mov_b32_e32 v24, v186
	v_mov_b32_e32 v25, v190
	;; [unrolled: 1-line block ×4, first 2 shown]
	v_pk_add_f32 v[18:19], v[22:23], v[18:19] op_sel:[1,0] op_sel_hi:[0,1]
	v_pk_add_f32 v[64:65], v[20:21], v[22:23] op_sel:[0,1] op_sel_hi:[1,0] neg_lo:[0,1] neg_hi:[0,1]
	v_pk_add_f32 v[20:21], v[156:157], v[160:161]
	v_mov_b32_e32 v30, v187
	v_mov_b32_e32 v31, v191
	;; [unrolled: 1-line block ×4, first 2 shown]
	v_pk_add_f32 v[20:21], v[20:21], v[172:173]
	v_pk_fma_f32 v[70:71], v[52:53], s[12:13], v[18:19] op_sel_hi:[1,0,1]
	v_mov_b32_e32 v18, v64
	v_pk_add_f32 v[24:25], v[24:25], v[28:29] neg_lo:[0,1] neg_hi:[0,1]
	v_pk_add_f32 v[20:21], v[20:21], v[164:165]
	v_pk_fma_f32 v[18:19], v[52:53], s[12:13], v[18:19] op_sel_hi:[1,0,1]
	v_mov_b32_e32 v28, v25
	v_pk_add_f32 v[30:31], v[30:31], v[32:33] neg_lo:[0,1] neg_hi:[0,1]
	v_pk_add_f32 v[66:67], v[20:21], v[168:169]
	v_pk_mul_f32 v[20:21], v[18:19], s[22:23] op_sel_hi:[1,0]
	v_pk_add_f32 v[28:29], v[24:25], v[28:29]
	v_mov_b32_e32 v32, v31
	v_pk_add_f32 v[34:35], v[34:35], v[26:27] op_sel:[0,1] op_sel_hi:[1,0] neg_lo:[0,1] neg_hi:[0,1]
	v_pk_fma_f32 v[54:55], v[18:19], s[14:15], v[20:21] op_sel:[0,0,1] op_sel_hi:[1,0,0] neg_lo:[0,0,1] neg_hi:[0,0,1]
	v_pk_fma_f32 v[20:21], v[18:19], s[14:15], v[20:21] op_sel:[0,0,1] op_sel_hi:[1,0,0]
	v_pk_add_f32 v[32:33], v[30:31], v[32:33]
	v_mov_b32_e32 v29, v39
	v_mov_b32_e32 v20, v34
	v_fmamk_f32 v34, v43, 0x3f737871, v57
	v_fmac_f32_e32 v57, 0xbf737871, v43
	v_mov_b32_e32 v33, v38
	v_pk_mul_f32 v[28:29], v[28:29], s[12:13]
	v_pk_add_f32 v[22:23], v[160:161], v[168:169]
	v_mov_b32_e32 v55, v21
	v_mov_b32_e32 v21, v37
	v_fmamk_f32 v37, v42, 0xbf737871, v59
	v_sub_f32_e32 v34, v34, v29
	v_add_f32_e32 v29, v29, v57
	v_pk_mul_f32 v[32:33], v[32:33], s[12:13]
	v_pk_add_f32 v[48:49], v[172:173], v[160:161] neg_lo:[0,1] neg_hi:[0,1]
	v_pk_add_f32 v[50:51], v[164:165], v[168:169] neg_lo:[0,1] neg_hi:[0,1]
	v_pk_fma_f32 v[78:79], v[22:23], 0.5, v[156:157] op_sel_hi:[1,0,1] neg_lo:[1,0,0] neg_hi:[1,0,0]
	v_fmac_f32_e32 v59, 0x3f737871, v42
	v_pk_mul_f32 v[42:43], v[46:47], s[0:1] op_sel_hi:[1,0]
	v_add_f32_e32 v34, v28, v34
	v_add_f32_e32 v28, v28, v29
	;; [unrolled: 1-line block ×3, first 2 shown]
	v_pk_add_f32 v[48:49], v[48:49], v[50:51]
	v_pk_add_f32 v[46:47], v[78:79], v[42:43] op_sel:[0,1] op_sel_hi:[1,0]
	v_pk_add_f32 v[50:51], v[78:79], v[42:43] op_sel:[0,1] op_sel_hi:[1,0] neg_lo:[0,1] neg_hi:[0,1]
	v_add_f32_e32 v78, v32, v29
	v_sub_f32_e32 v29, v59, v33
	v_pk_mul_f32 v[44:45], v[44:45], s[22:23] op_sel_hi:[1,0]
	v_add_f32_e32 v32, v32, v29
	v_pk_add_f32 v[50:51], v[50:51], v[44:45] op_sel:[0,1] op_sel_hi:[1,0]
	v_pk_add_f32 v[84:85], v[46:47], v[44:45] op_sel:[0,1] op_sel_hi:[1,0] neg_lo:[0,1] neg_hi:[0,1]
	v_pk_mul_f32 v[44:45], v[78:79], s[16:17] op_sel_hi:[0,1]
	v_pk_mul_f32 v[32:33], v[32:33], s[16:17] op_sel_hi:[0,1]
	v_pk_fma_f32 v[78:79], v[34:35], s[8:9], v[44:45] neg_lo:[0,0,1] neg_hi:[0,0,1]
	v_pk_fma_f32 v[46:47], v[34:35], s[8:9], v[44:45] op_sel_hi:[0,1,1]
	v_pk_fma_f32 v[86:87], v[28:29], s[18:19], v[32:33] op_sel_hi:[0,1,1] neg_lo:[0,0,1] neg_hi:[0,0,1]
	v_mov_b32_e32 v28, v84
	v_mov_b32_e32 v29, v51
	;; [unrolled: 1-line block ×4, first 2 shown]
	v_pk_fma_f32 v[88:89], v[48:49], s[12:13], v[28:29] op_sel_hi:[1,0,1]
	v_pk_fma_f32 v[84:85], v[48:49], s[12:13], v[50:51] op_sel_hi:[1,0,1]
	v_pk_add_f32 v[48:49], v[88:89], v[78:79]
	v_pk_add_f32 v[50:51], v[84:85], v[86:87]
	ds_write_b128 v69, v[48:51] offset:16
	v_pk_fma_f32 v[50:51], v[52:53], s[12:13], v[64:65] op_sel_hi:[1,0,1]
	v_mov_b32_e32 v37, v35
	v_pk_add_f32 v[4:5], v[4:5], v[190:191]
	v_pk_fma_f32 v[72:73], v[6:7], s[12:13], v[20:21] op_sel_hi:[1,0,1]
	v_pk_fma_f32 v[90:91], v[6:7], s[12:13], v[36:37] op_sel_hi:[1,0,1]
	v_pk_mul_f32 v[6:7], v[50:51], s[24:25] op_sel:[1,0]
	v_pk_add_f32 v[4:5], v[4:5], v[194:195]
	v_pk_fma_f32 v[70:71], v[70:71], s[20:21], v[6:7] op_sel_hi:[0,1,1] neg_lo:[0,0,1] neg_hi:[0,0,1]
	v_pk_add_f32 v[18:19], v[66:67], v[4:5]
	v_pk_add_f32 v[6:7], v[66:67], v[4:5] neg_lo:[0,1] neg_hi:[0,1]
	v_pk_add_f32 v[4:5], v[90:91], v[70:71]
	ds_write_b128 v69, v[4:7] offset:32
	v_pk_add_f32 v[4:5], v[72:73], v[54:55] neg_lo:[0,1] neg_hi:[0,1]
	v_pk_add_f32 v[6:7], v[88:89], v[78:79] neg_lo:[0,1] neg_hi:[0,1]
	ds_write_b128 v69, v[4:7] offset:48
	v_pk_add_f32 v[4:5], v[84:85], v[86:87] neg_lo:[0,1] neg_hi:[0,1]
	v_pk_add_f32 v[6:7], v[90:91], v[70:71] neg_lo:[0,1] neg_hi:[0,1]
	v_mov_b32_e32 v48, v232
	v_mov_b32_e32 v49, v232
	;; [unrolled: 1-line block ×3, first 2 shown]
	ds_write_b128 v69, v[4:7] offset:64
	v_accvgpr_read_b32 v4, a148
	v_mov_b32_e32 v28, v234
	v_mov_b32_e32 v29, v234
	;; [unrolled: 1-line block ×3, first 2 shown]
	v_accvgpr_write_b32 a210, v232
	v_accvgpr_read_b32 v5, a149
	v_accvgpr_write_b32 a211, v233
	v_accvgpr_write_b32 a212, v234
	;; [unrolled: 1-line block ×3, first 2 shown]
	v_mov_b32_e32 v234, v4
	v_mov_b32_e32 v235, v4
	;; [unrolled: 1-line block ×3, first 2 shown]
	v_accvgpr_write_b32 a149, v5
	v_mov_b32_e32 v30, v250
	v_mov_b32_e32 v31, v250
	;; [unrolled: 1-line block ×3, first 2 shown]
	v_accvgpr_write_b32 a148, v4
	v_accvgpr_read_b32 v4, a144
	v_accvgpr_read_b32 v105, a99
	v_pk_add_f32 v[20:21], v[72:73], v[54:55]
	v_mov_b32_e32 v22, v246
	v_mov_b32_e32 v23, v246
	;; [unrolled: 1-line block ×6, first 2 shown]
	v_accvgpr_write_b32 a104, v250
	v_accvgpr_read_b32 v70, a150
	v_accvgpr_read_b32 v5, a145
	;; [unrolled: 1-line block ×7, first 2 shown]
	ds_write_b128 v69, v[18:21]
	v_mov_b32_e32 v18, v248
	v_mov_b32_e32 v19, v248
	;; [unrolled: 1-line block ×3, first 2 shown]
	v_accvgpr_write_b32 a96, v246
	v_mov_b64_e32 v[164:165], v[244:245]
	v_accvgpr_write_b32 a105, v251
	v_accvgpr_write_b32 a106, v252
	;; [unrolled: 1-line block ×3, first 2 shown]
	v_accvgpr_read_b32 v71, a151
	v_accvgpr_read_b32 v72, a152
	;; [unrolled: 1-line block ×3, first 2 shown]
	v_mov_b32_e32 v244, v4
	v_mov_b32_e32 v245, v4
	;; [unrolled: 1-line block ×6, first 2 shown]
	v_accvgpr_write_b32 a147, v7
	v_accvgpr_read_b32 v101, a93
	v_accvgpr_write_b32 a97, v247
	v_accvgpr_write_b32 a98, v248
	;; [unrolled: 1-line block ×3, first 2 shown]
	v_mov_b32_e32 v42, v240
	v_mov_b32_e32 v43, v240
	;; [unrolled: 1-line block ×4, first 2 shown]
	v_accvgpr_write_b32 a128, v254
	v_accvgpr_mov_b32 a89, a88
	v_mov_b32_e32 v220, v70
	v_mov_b32_e32 v221, v70
	;; [unrolled: 1-line block ×6, first 2 shown]
	v_accvgpr_write_b32 a153, v73
	v_accvgpr_write_b32 a146, v6
	;; [unrolled: 1-line block ×4, first 2 shown]
	v_accvgpr_read_b32 v4, a140
	v_accvgpr_read_b32 v100, a92
	v_accvgpr_read_b32 v99, a91
	v_accvgpr_read_b32 v98, a90
	v_mov_b32_e32 v44, v242
	v_mov_b32_e32 v45, v242
	;; [unrolled: 1-line block ×3, first 2 shown]
	v_accvgpr_write_b32 a90, v240
	v_accvgpr_mov_b32 a125, a124
	v_accvgpr_mov_b32 a127, a126
	v_accvgpr_write_b32 a129, v255
	v_accvgpr_mov_b32 a131, a89
	v_mov_b32_e32 v254, v236
	v_mov_b32_e32 v255, v236
	;; [unrolled: 1-line block ×3, first 2 shown]
	v_accvgpr_write_b32 a152, v72
	v_accvgpr_write_b32 a151, v71
	;; [unrolled: 1-line block ×3, first 2 shown]
	v_accvgpr_read_b32 v5, a141
	v_accvgpr_read_b32 v6, a142
	;; [unrolled: 1-line block ×4, first 2 shown]
	v_accvgpr_write_b32 a91, v241
	v_accvgpr_write_b32 a92, v242
	;; [unrolled: 1-line block ×3, first 2 shown]
	v_accvgpr_mov_b32 a133, a125
	v_accvgpr_mov_b32 a135, a127
	;; [unrolled: 1-line block ×3, first 2 shown]
	v_accvgpr_write_b32 a88, v236
	v_mov_b32_e32 v242, v4
	v_mov_b32_e32 v243, v4
	;; [unrolled: 1-line block ×6, first 2 shown]
	v_accvgpr_write_b32 a143, v7
	v_accvgpr_read_b32 v71, a121
	v_accvgpr_read_b32 v72, a122
	;; [unrolled: 1-line block ×3, first 2 shown]
	v_accvgpr_mov_b32 a132, a124
	v_accvgpr_mov_b32 a134, a126
	v_accvgpr_write_b32 a89, v237
	v_accvgpr_write_b32 a142, v6
	;; [unrolled: 1-line block ×4, first 2 shown]
	v_mov_b32_e32 v236, v70
	v_mov_b32_e32 v237, v70
	;; [unrolled: 1-line block ×6, first 2 shown]
	v_accvgpr_write_b32 a127, v73
	v_accvgpr_read_b32 v74, a76
	v_mov_b32_e32 v32, v224
	v_mov_b32_e32 v33, v224
	;; [unrolled: 1-line block ×3, first 2 shown]
	v_accvgpr_write_b32 a126, v72
	v_accvgpr_write_b32 a125, v71
	;; [unrolled: 1-line block ×3, first 2 shown]
	v_accvgpr_read_b32 v70, a112
	v_accvgpr_read_b32 v75, a77
	;; [unrolled: 1-line block ×4, first 2 shown]
	v_mov_b32_e32 v34, v226
	v_mov_b32_e32 v35, v226
	;; [unrolled: 1-line block ×3, first 2 shown]
	v_accvgpr_write_b32 a76, v224
	v_accvgpr_read_b32 v71, a113
	v_accvgpr_read_b32 v72, a114
	;; [unrolled: 1-line block ×3, first 2 shown]
	v_accvgpr_write_b32 a77, v225
	v_accvgpr_write_b32 a78, v226
	v_accvgpr_write_b32 a79, v227
	v_mov_b32_e32 v232, v70
	v_mov_b32_e32 v233, v70
	;; [unrolled: 1-line block ×6, first 2 shown]
	v_accvgpr_write_b32 a115, v73
	v_accvgpr_read_b32 v155, a83
	v_accvgpr_read_b32 v97, a81
	v_mov_b32_e32 v50, v228
	v_mov_b32_e32 v51, v228
	;; [unrolled: 1-line block ×3, first 2 shown]
	v_accvgpr_write_b32 a114, v72
	v_accvgpr_write_b32 a113, v71
	;; [unrolled: 1-line block ×3, first 2 shown]
	v_accvgpr_read_b32 v70, a116
	v_accvgpr_read_b32 v154, a82
	;; [unrolled: 1-line block ×3, first 2 shown]
	v_mov_b32_e32 v64, v230
	v_mov_b32_e32 v65, v230
	;; [unrolled: 1-line block ×3, first 2 shown]
	v_accvgpr_write_b32 a80, v228
	v_accvgpr_read_b32 v71, a117
	v_accvgpr_read_b32 v72, a118
	v_accvgpr_read_b32 v73, a119
	v_accvgpr_write_b32 a81, v229
	v_accvgpr_write_b32 a82, v230
	;; [unrolled: 1-line block ×3, first 2 shown]
	v_accvgpr_read_b32 v4, a138
	v_mov_b32_e32 v230, v70
	v_mov_b32_e32 v231, v70
	;; [unrolled: 1-line block ×6, first 2 shown]
	v_accvgpr_write_b32 a119, v73
	v_accvgpr_read_b32 v5, a139
	v_accvgpr_write_b32 a118, v72
	v_accvgpr_write_b32 a117, v71
	;; [unrolled: 1-line block ×3, first 2 shown]
	v_accvgpr_read_b32 v70, a100
	v_mov_b32_e32 v240, v4
	v_mov_b32_e32 v241, v4
	;; [unrolled: 1-line block ×3, first 2 shown]
	v_accvgpr_write_b32 a139, v5
	v_accvgpr_read_b32 v71, a101
	v_accvgpr_read_b32 v72, a102
	v_accvgpr_read_b32 v73, a103
	v_mov_b64_e32 v[114:115], v[238:239]
	v_accvgpr_write_b32 a138, v4
	v_accvgpr_read_b32 v4, a110
	v_mov_b32_e32 v218, v70
	v_mov_b32_e32 v219, v70
	;; [unrolled: 1-line block ×6, first 2 shown]
	v_accvgpr_write_b32 a103, v73
	v_accvgpr_read_b32 v5, a111
	v_accvgpr_write_b32 a102, v72
	v_accvgpr_write_b32 a101, v71
	;; [unrolled: 1-line block ×3, first 2 shown]
	v_accvgpr_read_b32 v70, a94
	v_mov_b32_e32 v226, v4
	v_mov_b32_e32 v227, v4
	;; [unrolled: 1-line block ×3, first 2 shown]
	v_accvgpr_write_b32 a111, v5
	v_accvgpr_read_b32 v71, a95
	v_accvgpr_write_b32 a110, v4
	v_mov_b32_e32 v4, v70
	v_mov_b32_e32 v5, v70
	;; [unrolled: 1-line block ×3, first 2 shown]
	v_accvgpr_write_b32 a95, v71
	v_accvgpr_write_b32 a94, v70
	v_mov_b32_e32 v71, v150
	v_mov_b32_e32 v70, v150
	v_accvgpr_write_b32 a235, v71
	v_accvgpr_write_b32 a234, v70
	v_accvgpr_read_b32 v71, a158
	v_accvgpr_read_b32 v70, a158
	v_accvgpr_write_b32 a231, v71
	v_accvgpr_write_b32 a230, v70
	v_mov_b32_e32 v71, v148
	v_mov_b32_e32 v70, v148
	v_accvgpr_write_b32 a227, v71
	v_accvgpr_write_b32 a226, v70
	v_accvgpr_read_b32 v70, a192
	v_accvgpr_read_b32 v71, a193
	;; [unrolled: 1-line block ×4, first 2 shown]
	v_mov_b32_e32 v180, v70
	v_mov_b32_e32 v181, v70
	;; [unrolled: 1-line block ×6, first 2 shown]
	v_accvgpr_write_b32 a199, v73
	v_accvgpr_write_b32 a198, v72
	;; [unrolled: 1-line block ×4, first 2 shown]
	v_accvgpr_read_b32 v70, a164
	v_accvgpr_read_b32 v71, a165
	v_mov_b32_e32 v176, v70
	v_mov_b32_e32 v177, v70
	;; [unrolled: 1-line block ×3, first 2 shown]
	v_accvgpr_write_b32 a195, v71
	v_accvgpr_write_b32 a194, v70
	v_accvgpr_read_b32 v70, a188
	v_accvgpr_read_b32 v71, a189
	v_accvgpr_read_b32 v72, a190
	v_accvgpr_read_b32 v73, a191
	v_mov_b32_e32 v174, v70
	v_mov_b32_e32 v175, v70
	;; [unrolled: 1-line block ×6, first 2 shown]
	v_accvgpr_write_b32 a193, v73
	v_accvgpr_write_b32 a192, v72
	;; [unrolled: 1-line block ×4, first 2 shown]
	v_accvgpr_read_b32 v70, a184
	v_accvgpr_read_b32 v71, a185
	;; [unrolled: 1-line block ×4, first 2 shown]
	v_mov_b32_e32 v170, v70
	v_mov_b32_e32 v171, v70
	;; [unrolled: 1-line block ×6, first 2 shown]
	v_accvgpr_write_b32 a189, v73
	v_accvgpr_write_b32 a188, v72
	;; [unrolled: 1-line block ×4, first 2 shown]
	v_accvgpr_read_b32 v70, a162
	v_accvgpr_read_b32 v71, a163
	v_mov_b32_e32 v166, v70
	v_mov_b32_e32 v167, v70
	;; [unrolled: 1-line block ×3, first 2 shown]
	v_accvgpr_write_b32 a185, v71
	v_accvgpr_write_b32 a184, v70
	v_accvgpr_read_b32 v70, a204
	v_accvgpr_read_b32 v71, a205
	v_mov_b32_e32 v206, v70
	v_mov_b32_e32 v207, v70
	;; [unrolled: 1-line block ×3, first 2 shown]
	v_accvgpr_write_b32 a205, v71
	v_accvgpr_write_b32 a204, v70
	v_accvgpr_read_b32 v70, a202
	v_accvgpr_read_b32 v71, a203
	v_mov_b32_e32 v54, v80
	v_mov_b32_e32 v55, v80
	;; [unrolled: 1-line block ×6, first 2 shown]
	v_accvgpr_write_b32 a203, v71
	v_mov_b64_e32 v[108:109], v[80:81]
	v_accvgpr_read_b32 v78, a154
	v_accvgpr_write_b32 a202, v70
	v_accvgpr_read_b32 v70, a200
	v_mov_b32_e32 v66, v94
	v_mov_b32_e32 v67, v94
	;; [unrolled: 1-line block ×3, first 2 shown]
	v_accvgpr_read_b32 v79, a155
	v_accvgpr_read_b32 v80, a156
	;; [unrolled: 1-line block ×4, first 2 shown]
	v_mov_b32_e32 v36, v82
	v_mov_b32_e32 v37, v82
	;; [unrolled: 1-line block ×6, first 2 shown]
	v_mov_b64_e32 v[112:113], v[94:95]
	v_mov_b32_e32 v248, v78
	v_mov_b32_e32 v249, v78
	;; [unrolled: 1-line block ×6, first 2 shown]
	v_accvgpr_write_b32 a157, v81
	v_mov_b32_e32 v150, v151
	v_accvgpr_write_b32 a232, v152
	v_accvgpr_write_b32 a233, v152
	v_mov_b32_e32 v152, v153
	v_accvgpr_write_b32 a179, v153
	v_accvgpr_mov_b32 a158, a159
	v_accvgpr_mov_b32 a228, a160
	v_accvgpr_mov_b32 a229, a160
	v_accvgpr_mov_b32 a160, a161
	v_accvgpr_mov_b32 a183, a161
	v_mov_b32_e32 v148, v149
	v_accvgpr_write_b32 a175, v149
	v_mov_b32_e32 v190, v70
	v_mov_b32_e32 v191, v70
	;; [unrolled: 1-line block ×3, first 2 shown]
	v_accvgpr_write_b32 a201, v71
	v_mov_b32_e32 v2, v154
	v_mov_b32_e32 v3, v154
	;; [unrolled: 1-line block ×30, first 2 shown]
	v_mov_b64_e32 v[106:107], v[82:83]
	v_mov_b64_e32 v[110:111], v[92:93]
	v_mov_b32_e32 v61, v60
	v_mov_b32_e32 v63, v62
	;; [unrolled: 1-line block ×4, first 2 shown]
	v_accvgpr_write_b32 a156, v80
	v_accvgpr_write_b32 a155, v79
	;; [unrolled: 1-line block ×6, first 2 shown]
	v_accvgpr_mov_b32 a182, a160
	v_accvgpr_mov_b32 a181, a159
	;; [unrolled: 1-line block ×3, first 2 shown]
	v_accvgpr_write_b32 a174, v148
	v_mov_b32_e32 v188, v126
	v_mov_b32_e32 v189, v126
	;; [unrolled: 1-line block ×42, first 2 shown]
	v_accvgpr_write_b32 a200, v70
	s_mov_b32 s0, -0.5
	s_and_saveexec_b64 s[22:23], s[2:3]
	s_cbranch_execz .LBB0_13
; %bb.12:
	v_accvgpr_write_b32 a225, v123
	v_accvgpr_write_b32 a224, v122
	;; [unrolled: 1-line block ×4, first 2 shown]
	v_accvgpr_read_b32 v120, a218
	v_accvgpr_read_b32 v121, a219
	;; [unrolled: 1-line block ×4, first 2 shown]
	v_accvgpr_write_b32 a161, v101
	v_accvgpr_write_b32 a221, v119
	;; [unrolled: 1-line block ×6, first 2 shown]
	v_accvgpr_read_b32 v101, a71
	v_accvgpr_write_b32 a220, v118
	v_accvgpr_write_b32 a219, v117
	;; [unrolled: 1-line block ×3, first 2 shown]
	v_accvgpr_read_b32 v116, a214
	v_accvgpr_write_b32 a164, v104
	v_accvgpr_write_b32 a163, v103
	;; [unrolled: 1-line block ×3, first 2 shown]
	v_accvgpr_read_b32 v105, a75
	v_accvgpr_read_b32 v100, a70
	;; [unrolled: 1-line block ×4, first 2 shown]
	v_mov_b32_e32 v70, v122
	v_mov_b32_e32 v71, v100
	;; [unrolled: 1-line block ×4, first 2 shown]
	v_accvgpr_read_b32 v119, a217
	v_pk_add_f32 v[70:71], v[70:71], v[72:73] neg_lo:[0,1] neg_hi:[0,1]
	v_accvgpr_read_b32 v99, a69
	v_accvgpr_read_b32 v98, a68
	;; [unrolled: 1-line block ×5, first 2 shown]
	v_mov_b32_e32 v72, v71
	v_accvgpr_read_b32 v160, a206
	v_mov_b32_e32 v78, v123
	v_mov_b32_e32 v79, v101
	;; [unrolled: 1-line block ×4, first 2 shown]
	v_pk_add_f32 v[70:71], v[70:71], v[72:73]
	v_pk_add_f32 v[72:73], v[118:119], v[104:105]
	v_accvgpr_read_b32 v162, a208
	v_pk_add_f32 v[78:79], v[78:79], v[84:85] neg_lo:[0,1] neg_hi:[0,1]
	v_pk_add_f32 v[80:81], v[116:117], v[120:121] neg_lo:[0,1] neg_hi:[0,1]
	;; [unrolled: 1-line block ×3, first 2 shown]
	v_accvgpr_read_b32 v163, a209
	v_fma_f32 v86, -0.5, v72, v162
	v_mov_b32_e32 v72, v79
	s_mov_b32 s24, s9
	v_pk_add_f32 v[80:81], v[80:81], v[82:83]
	v_pk_add_f32 v[82:83], v[122:123], v[100:101]
	v_pk_add_f32 v[92:93], v[118:119], v[104:105] neg_lo:[0,1] neg_hi:[0,1]
	v_pk_add_f32 v[78:79], v[78:79], v[72:73]
	s_mov_b32 s26, s13
	v_pk_fma_f32 v[82:83], v[82:83], 0.5, v[162:163] op_sel_hi:[1,0,1] neg_lo:[1,0,0] neg_hi:[1,0,0]
	v_pk_mul_f32 v[94:95], v[92:93], s[24:25] op_sel_hi:[1,0]
	v_pk_add_f32 v[150:151], v[122:123], v[100:101] neg_lo:[0,1] neg_hi:[0,1]
	v_accvgpr_write_b32 a70, v154
	v_mov_b32_e32 v71, v93
	v_pk_add_f32 v[148:149], v[82:83], v[94:95] op_sel:[0,1] op_sel_hi:[1,0]
	v_pk_mul_f32 v[152:153], v[150:151], s[26:27] op_sel_hi:[1,0]
	v_accvgpr_write_b32 a71, v155
	v_pk_add_f32 v[154:155], v[118:119], v[122:123] neg_lo:[0,1] neg_hi:[0,1]
	v_pk_add_f32 v[88:89], v[104:105], v[100:101] neg_lo:[0,1] neg_hi:[0,1]
	v_pk_mul_f32 v[70:71], v[70:71], s[12:13]
	v_fmamk_f32 v79, v151, 0xbf737871, v86
	v_pk_add_f32 v[148:149], v[152:153], v[148:149] op_sel:[1,0] op_sel_hi:[0,1]
	v_pk_add_f32 v[88:89], v[154:155], v[88:89]
	v_pk_add_f32 v[82:83], v[82:83], v[94:95] op_sel:[0,1] op_sel_hi:[1,0] neg_lo:[0,1] neg_hi:[0,1]
	v_add_f32_e32 v79, v71, v79
	v_fma_f32 v87, -0.5, v73, v163
	v_pk_fma_f32 v[154:155], v[88:89], s[12:13], v[148:149] op_sel_hi:[1,0,1]
	v_pk_add_f32 v[82:83], v[82:83], v[152:153] op_sel:[0,1] op_sel_hi:[1,0] neg_lo:[0,1] neg_hi:[0,1]
	v_add_f32_e32 v148, v70, v79
	v_mov_b32_e32 v79, v92
	v_accvgpr_read_b32 v161, a207
	v_pk_fma_f32 v[94:95], v[88:89], s[12:13], v[82:83] op_sel_hi:[1,0,1]
	v_fmamk_f32 v83, v150, 0x3f737871, v87
	v_pk_mul_f32 v[78:79], v[78:79], s[12:13]
	v_fmac_f32_e32 v86, 0x3f737871, v151
	v_accvgpr_write_b32 a123, v77
	v_pk_add_f32 v[72:73], v[160:161], v[116:117]
	v_accvgpr_write_b32 a68, v96
	v_pk_add_f32 v[90:91], v[120:121], v[98:99]
	v_pk_add_f32 v[156:157], v[116:117], v[102:103] neg_lo:[0,1] neg_hi:[0,1]
	v_sub_f32_e32 v83, v83, v79
	v_sub_f32_e32 v71, v86, v71
	v_fmac_f32_e32 v87, 0xbf737871, v150
	v_accvgpr_write_b32 a122, v76
	v_accvgpr_write_b32 a121, v75
	;; [unrolled: 1-line block ×4, first 2 shown]
	v_lshlrev_b32_e32 v96, 3, v68
	v_pk_add_f32 v[68:69], v[72:73], v[120:121]
	v_pk_fma_f32 v[90:91], v[90:91], 0.5, v[160:161] op_sel_hi:[1,0,1] neg_lo:[1,0,0] neg_hi:[1,0,0]
	v_pk_mul_f32 v[158:159], v[156:157], s[24:25] op_sel_hi:[1,0]
	v_pk_add_f32 v[74:75], v[120:121], v[98:99] neg_lo:[0,1] neg_hi:[0,1]
	v_add_f32_e32 v92, v78, v83
	v_add_f32_e32 v152, v70, v71
	;; [unrolled: 1-line block ×3, first 2 shown]
	v_mov_b32_e32 v83, v149
	v_pk_add_f32 v[84:85], v[162:163], v[118:119]
	v_pk_add_f32 v[68:69], v[68:69], v[98:99]
	v_pk_mul_f32 v[76:77], v[74:75], s[26:27] op_sel_hi:[1,0]
	v_add_f32_e32 v78, v78, v70
	v_pk_fma_f32 v[70:71], v[88:89], s[12:13], v[82:83] op_sel_hi:[1,0,1]
	v_pk_add_f32 v[82:83], v[90:91], v[158:159] op_sel:[0,1] op_sel_hi:[1,0] neg_lo:[0,1] neg_hi:[0,1]
	v_pk_add_f32 v[88:89], v[90:91], v[158:159] op_sel:[0,1] op_sel_hi:[1,0]
	v_pk_add_f32 v[72:73], v[68:69], v[102:103]
	v_pk_add_f32 v[68:69], v[84:85], v[122:123]
	v_pk_add_f32 v[88:89], v[88:89], v[76:77] op_sel:[0,1] op_sel_hi:[1,0]
	v_pk_add_f32 v[76:77], v[82:83], v[76:77] op_sel:[0,1] op_sel_hi:[1,0] neg_lo:[0,1] neg_hi:[0,1]
	v_pk_mul_f32 v[90:91], v[70:71], s[26:27] op_sel_hi:[1,0]
	v_pk_add_f32 v[68:69], v[68:69], v[100:101]
	v_mov_b32_e32 v82, v76
	v_mov_b32_e32 v83, v89
	v_pk_fma_f32 v[150:151], v[70:71], s[14:15], v[90:91] op_sel:[0,0,1] op_sel_hi:[1,0,0] neg_lo:[0,0,1] neg_hi:[0,0,1]
	v_pk_fma_f32 v[70:71], v[70:71], s[14:15], v[90:91] op_sel:[0,0,1] op_sel_hi:[1,0,0]
	v_pk_add_f32 v[84:85], v[68:69], v[104:105]
	v_pk_fma_f32 v[82:83], v[80:81], s[12:13], v[82:83] op_sel_hi:[1,0,1]
	v_mov_b32_e32 v151, v71
	v_pk_add_f32 v[68:69], v[72:73], v[84:85]
	v_pk_add_f32 v[70:71], v[82:83], v[150:151]
	ds_write_b128 v96, v[68:71]
	v_pk_add_f32 v[68:69], v[120:121], v[116:117] neg_lo:[0,1] neg_hi:[0,1]
	v_pk_add_f32 v[70:71], v[98:99], v[102:103] neg_lo:[0,1] neg_hi:[0,1]
	v_pk_mul_f32 v[74:75], v[74:75], s[24:25] op_sel_hi:[1,0]
	v_pk_add_f32 v[70:71], v[68:69], v[70:71]
	v_pk_add_f32 v[68:69], v[116:117], v[102:103]
	v_pk_mul_f32 v[90:91], v[156:157], s[26:27] op_sel_hi:[1,0]
	v_pk_fma_f32 v[68:69], v[68:69], 0.5, v[160:161] op_sel_hi:[1,0,1] neg_lo:[1,0,0] neg_hi:[1,0,0]
	v_pk_mul_f32 v[92:93], v[92:93], s[16:17] op_sel_hi:[0,1]
	v_pk_add_f32 v[156:157], v[68:69], v[74:75] op_sel:[0,1] op_sel_hi:[1,0]
	v_pk_add_f32 v[68:69], v[68:69], v[74:75] op_sel:[0,1] op_sel_hi:[1,0] neg_lo:[0,1] neg_hi:[0,1]
	v_pk_fma_f32 v[92:93], v[148:149], s[18:19], v[92:93] op_sel_hi:[0,1,1] neg_lo:[0,0,1] neg_hi:[0,0,1]
	v_pk_add_f32 v[74:75], v[68:69], v[90:91] op_sel:[0,1] op_sel_hi:[1,0]
	v_pk_add_f32 v[90:91], v[156:157], v[90:91] op_sel:[0,1] op_sel_hi:[1,0] neg_lo:[0,1] neg_hi:[0,1]
	v_mov_b32_e32 v69, v75
	v_mov_b32_e32 v68, v90
	v_pk_fma_f32 v[156:157], v[70:71], s[12:13], v[68:69] op_sel_hi:[1,0,1]
	v_pk_mul_f32 v[68:69], v[78:79], s[16:17] op_sel_hi:[0,1]
	v_pk_fma_f32 v[78:79], v[152:153], s[8:9], v[68:69] neg_lo:[0,0,1] neg_hi:[0,0,1]
	v_pk_fma_f32 v[68:69], v[152:153], s[8:9], v[68:69] op_sel_hi:[0,1,1]
	v_mov_b32_e32 v75, v91
	v_mov_b32_e32 v79, v69
	v_pk_fma_f32 v[74:75], v[70:71], s[12:13], v[74:75] op_sel_hi:[1,0,1]
	v_pk_add_f32 v[68:69], v[156:157], v[78:79]
	v_pk_add_f32 v[70:71], v[74:75], v[92:93]
	s_mov_b32 s8, 0xbf167918
	s_mov_b32 s9, s20
	ds_write_b128 v96, v[68:71] offset:16
	v_mov_b32_e32 v89, v77
	v_pk_mul_f32 v[68:69], v[94:95], s[8:9] op_sel:[1,0]
	v_pk_fma_f32 v[76:77], v[80:81], s[12:13], v[88:89] op_sel_hi:[1,0,1]
	v_pk_fma_f32 v[80:81], v[154:155], s[20:21], v[68:69] op_sel_hi:[0,1,1]
	v_pk_add_f32 v[68:69], v[76:77], v[80:81]
	v_pk_add_f32 v[70:71], v[72:73], v[84:85] neg_lo:[0,1] neg_hi:[0,1]
	ds_write_b128 v96, v[68:71] offset:32
	v_pk_add_f32 v[68:69], v[82:83], v[150:151] neg_lo:[0,1] neg_hi:[0,1]
	v_pk_add_f32 v[70:71], v[156:157], v[78:79] neg_lo:[0,1] neg_hi:[0,1]
	ds_write_b128 v96, v[68:71] offset:48
	v_pk_add_f32 v[68:69], v[74:75], v[92:93] neg_lo:[0,1] neg_hi:[0,1]
	v_pk_add_f32 v[70:71], v[76:77], v[80:81] neg_lo:[0,1] neg_hi:[0,1]
	v_accvgpr_read_b32 v120, a222
	v_accvgpr_read_b32 v98, a158
	;; [unrolled: 1-line block ×5, first 2 shown]
	ds_write_b128 v96, v[68:71] offset:64
	v_accvgpr_read_b32 v97, a69
	v_accvgpr_read_b32 v74, a120
	;; [unrolled: 1-line block ×19, first 2 shown]
.LBB0_13:
	s_or_b64 exec, exec, s[22:23]
	v_add_u32_e32 v78, 0x1800, v216
	s_waitcnt lgkmcnt(0)
	; wave barrier
	s_waitcnt lgkmcnt(0)
	ds_read2_b64 v[68:71], v78 offset0:192 offset1:252
	v_accvgpr_read_b32 v84, a170
	v_accvgpr_read_b32 v86, a172
	;; [unrolled: 1-line block ×4, first 2 shown]
	s_waitcnt lgkmcnt(0)
	v_pk_mul_f32 v[72:73], v[86:87], v[70:71]
	v_accvgpr_read_b32 v82, a168
	v_pk_fma_f32 v[94:95], v[16:17], v[70:71], v[72:73] op_sel:[0,0,1] op_sel_hi:[1,1,0]
	v_pk_fma_f32 v[16:17], v[16:17], v[70:71], v[72:73] op_sel:[0,0,1] op_sel_hi:[1,1,0] neg_lo:[0,0,1] neg_hi:[0,0,1]
	v_accvgpr_read_b32 v83, a169
	v_mov_b32_e32 v95, v17
	v_pk_mul_f32 v[16:17], v[104:105], v[68:69]
	v_add_u32_e32 v79, 0x1000, v216
	v_pk_fma_f32 v[150:151], v[12:13], v[68:69], v[16:17] op_sel:[0,0,1] op_sel_hi:[1,1,0] neg_lo:[0,0,1] neg_hi:[0,0,1]
	v_pk_fma_f32 v[148:149], v[12:13], v[68:69], v[16:17] op_sel:[0,0,1] op_sel_hi:[1,1,0]
	v_add_u32_e32 v150, 0x3000, v216
	ds_read2_b64 v[68:71], v150 offset0:144 offset1:204
	v_accvgpr_read_b32 v85, a171
	v_accvgpr_read_b32 v81, a167
	v_add_u32_e32 v217, 0xc00, v216
	ds_read2_b64 v[156:159], v150 offset0:24 offset1:84
	s_waitcnt lgkmcnt(1)
	v_pk_mul_f32 v[16:17], v[82:83], v[70:71]
	v_accvgpr_read_b32 v86, a90
	v_pk_fma_f32 v[12:13], v[8:9], v[70:71], v[16:17] op_sel:[0,0,1] op_sel_hi:[1,1,0]
	v_pk_fma_f32 v[8:9], v[8:9], v[70:71], v[16:17] op_sel:[0,0,1] op_sel_hi:[1,1,0] neg_lo:[0,0,1] neg_hi:[0,0,1]
	v_accvgpr_read_b32 v87, a91
	v_accvgpr_write_b32 a69, v9
	v_pk_mul_f32 v[8:9], v[100:101], v[68:69]
	v_accvgpr_read_b32 v88, a92
	v_pk_fma_f32 v[90:91], v[14:15], v[68:69], v[8:9] op_sel:[0,0,1] op_sel_hi:[1,1,0]
	v_pk_fma_f32 v[152:153], v[14:15], v[68:69], v[8:9] op_sel:[0,0,1] op_sel_hi:[1,1,0] neg_lo:[0,0,1] neg_hi:[0,0,1]
	ds_read2_b64 v[68:71], v79 offset0:88 offset1:148
	v_add_u32_e32 v152, 0x2800, v216
	v_accvgpr_read_b32 v89, a93
	s_mov_b32 s8, 0x3f5db3d7
	s_mov_b32 s9, 0.5
	s_waitcnt lgkmcnt(0)
	v_pk_mul_f32 v[8:9], v[84:85], v[70:71]
	v_pk_mul_f32 v[16:17], v[102:103], v[68:69]
	v_pk_fma_f32 v[14:15], v[144:145], v[70:71], v[8:9] op_sel:[0,0,1] op_sel_hi:[1,1,0]
	v_pk_fma_f32 v[8:9], v[144:145], v[70:71], v[8:9] op_sel:[0,0,1] op_sel_hi:[1,1,0] neg_lo:[0,0,1] neg_hi:[0,0,1]
	v_pk_fma_f32 v[92:93], v[146:147], v[68:69], v[16:17] op_sel:[0,0,1] op_sel_hi:[1,1,0]
	v_pk_fma_f32 v[84:85], v[146:147], v[68:69], v[16:17] op_sel:[0,0,1] op_sel_hi:[1,1,0] neg_lo:[0,0,1] neg_hi:[0,0,1]
	ds_read2_b64 v[68:71], v152 offset0:40 offset1:100
	v_add_u32_e32 v84, 0x3c00, v216
	s_mov_b32 s12, s9
	s_mov_b32 s13, s8
	;; [unrolled: 1-line block ×3, first 2 shown]
	s_waitcnt lgkmcnt(0)
	v_pk_mul_f32 v[16:17], v[80:81], v[70:71]
	v_accvgpr_read_b32 v8, a108
	v_pk_fma_f32 v[82:83], v[0:1], v[70:71], v[16:17] op_sel:[0,0,1] op_sel_hi:[1,1,0]
	v_pk_fma_f32 v[0:1], v[0:1], v[70:71], v[16:17] op_sel:[0,0,1] op_sel_hi:[1,1,0] neg_lo:[0,0,1] neg_hi:[0,0,1]
	v_mov_b32_e32 v149, v151
	v_mov_b32_e32 v83, v1
	v_pk_mul_f32 v[0:1], v[98:99], v[68:69]
	v_mov_b32_e32 v91, v153
	v_pk_fma_f32 v[80:81], v[10:11], v[68:69], v[0:1] op_sel:[0,0,1] op_sel_hi:[1,1,0]
	v_pk_fma_f32 v[16:17], v[10:11], v[68:69], v[0:1] op_sel:[0,0,1] op_sel_hi:[1,1,0] neg_lo:[0,0,1] neg_hi:[0,0,1]
	ds_read2_b64 v[68:71], v84 offset0:120 offset1:180
	v_mov_b32_e32 v81, v17
	v_mov_b32_e32 v93, v85
	v_accvgpr_read_b32 v15, a67
	s_waitcnt lgkmcnt(0)
	v_pk_mul_f32 v[0:1], v[154:155], v[70:71]
	s_nop 0
	v_pk_fma_f32 v[10:11], v[2:3], v[70:71], v[0:1] op_sel:[0,0,1] op_sel_hi:[1,1,0]
	v_pk_fma_f32 v[0:1], v[2:3], v[70:71], v[0:1] op_sel:[0,0,1] op_sel_hi:[1,1,0] neg_lo:[0,0,1] neg_hi:[0,0,1]
	v_accvgpr_read_b32 v11, a87
	v_accvgpr_write_b32 a71, v1
	v_pk_mul_f32 v[0:1], v[96:97], v[68:69]
	v_accvgpr_read_b32 v96, a96
	v_pk_fma_f32 v[144:145], v[40:41], v[68:69], v[0:1] op_sel:[0,0,1] op_sel_hi:[1,1,0]
	v_pk_fma_f32 v[40:41], v[40:41], v[68:69], v[0:1] op_sel:[0,0,1] op_sel_hi:[1,1,0] neg_lo:[0,0,1] neg_hi:[0,0,1]
	ds_read2_b64 v[0:3], v217 offset0:96 offset1:156
	v_accvgpr_read_b32 v97, a97
	v_accvgpr_read_b32 v98, a98
	;; [unrolled: 1-line block ×3, first 2 shown]
	v_mov_b32_e32 v145, v41
	s_waitcnt lgkmcnt(0)
	v_pk_mul_f32 v[68:69], v[74:75], v[2:3]
	v_accvgpr_read_b32 v72, a104
	v_accvgpr_read_b32 v73, a105
	v_pk_fma_f32 v[146:147], v[26:27], v[2:3], v[68:69] op_sel:[0,0,1] op_sel_hi:[1,1,0]
	v_pk_fma_f32 v[26:27], v[26:27], v[2:3], v[68:69] op_sel:[0,0,1] op_sel_hi:[1,1,0] neg_lo:[0,0,1] neg_hi:[0,0,1]
	v_pk_mul_f32 v[68:69], v[72:73], v[0:1]
	ds_read2_b64 v[70:73], v78 offset0:72 offset1:132
	v_accvgpr_read_b32 v74, a106
	v_accvgpr_read_b32 v75, a107
	v_pk_fma_f32 v[2:3], v[30:31], v[0:1], v[68:69] op_sel:[0,0,1] op_sel_hi:[1,1,0]
	v_pk_fma_f32 v[0:1], v[30:31], v[0:1], v[68:69] op_sel:[0,0,1] op_sel_hi:[1,1,0] neg_lo:[0,0,1] neg_hi:[0,0,1]
	s_waitcnt lgkmcnt(0)
	v_pk_mul_f32 v[68:69], v[76:77], v[72:73]
	v_accvgpr_read_b32 v3, a137
	v_pk_fma_f32 v[30:31], v[20:21], v[72:73], v[68:69] op_sel:[0,0,1] op_sel_hi:[1,1,0]
	v_pk_fma_f32 v[154:155], v[20:21], v[72:73], v[68:69] op_sel:[0,0,1] op_sel_hi:[1,1,0] neg_lo:[0,0,1] neg_hi:[0,0,1]
	v_pk_mul_f32 v[20:21], v[74:75], v[70:71]
	v_add_u32_e32 v154, 0x3800, v216
	v_pk_fma_f32 v[68:69], v[38:39], v[70:71], v[20:21] op_sel:[0,0,1] op_sel_hi:[1,1,0]
	v_pk_fma_f32 v[70:71], v[38:39], v[70:71], v[20:21] op_sel:[0,0,1] op_sel_hi:[1,1,0] neg_lo:[0,0,1] neg_hi:[0,0,1]
	v_mov_b32_e32 v31, v155
	v_add_u32_e32 v70, 0x2000, v216
	ds_read2_b64 v[72:75], v70 offset0:176 offset1:236
	v_mov_b32_e32 v69, v71
	v_mov_b32_e32 v147, v27
	v_pk_add_f32 v[16:17], v[80:81], v[144:145] neg_lo:[0,1] neg_hi:[0,1]
	s_waitcnt lgkmcnt(0)
	v_pk_mul_f32 v[38:39], v[96:97], v[74:75]
	s_nop 0
	v_pk_fma_f32 v[20:21], v[22:23], v[74:75], v[38:39] op_sel:[0,0,1] op_sel_hi:[1,1,0]
	v_pk_fma_f32 v[38:39], v[22:23], v[74:75], v[38:39] op_sel:[0,0,1] op_sel_hi:[1,1,0] neg_lo:[0,0,1] neg_hi:[0,0,1]
	v_pk_mul_f32 v[22:23], v[86:87], v[72:73]
	v_mov_b32_e32 v21, v39
	v_pk_fma_f32 v[74:75], v[42:43], v[72:73], v[22:23] op_sel:[0,0,1] op_sel_hi:[1,1,0]
	v_pk_fma_f32 v[76:77], v[42:43], v[72:73], v[22:23] op_sel:[0,0,1] op_sel_hi:[1,1,0] neg_lo:[0,0,1] neg_hi:[0,0,1]
	v_pk_mul_f32 v[42:43], v[98:99], v[158:159]
	v_add_u32_e32 v76, 0x800, v216
	v_pk_fma_f32 v[22:23], v[18:19], v[158:159], v[42:43] op_sel:[0,0,1] op_sel_hi:[1,1,0]
	v_pk_fma_f32 v[18:19], v[18:19], v[158:159], v[42:43] op_sel:[0,0,1] op_sel_hi:[1,1,0] neg_lo:[0,0,1] neg_hi:[0,0,1]
	v_pk_mul_f32 v[42:43], v[88:89], v[156:157]
	v_accvgpr_read_b32 v98, a210
	v_pk_fma_f32 v[72:73], v[44:45], v[156:157], v[42:43] op_sel:[0,0,1] op_sel_hi:[1,1,0]
	v_pk_fma_f32 v[88:89], v[44:45], v[156:157], v[42:43] op_sel:[0,0,1] op_sel_hi:[1,1,0] neg_lo:[0,0,1] neg_hi:[0,0,1]
	ds_read2_b64 v[156:159], v154 offset0:128 offset1:188
	v_accvgpr_read_b32 v99, a211
	v_accvgpr_read_b32 v100, a212
	;; [unrolled: 1-line block ×3, first 2 shown]
	v_add_u32_e32 v88, 0x400, v216
	s_waitcnt lgkmcnt(0)
	v_pk_mul_f32 v[44:45], v[164:165], v[158:159]
	v_mov_b32_e32 v75, v77
	v_pk_fma_f32 v[42:43], v[24:25], v[158:159], v[44:45] op_sel:[0,0,1] op_sel_hi:[1,1,0]
	v_pk_fma_f32 v[24:25], v[24:25], v[158:159], v[44:45] op_sel:[0,0,1] op_sel_hi:[1,1,0] neg_lo:[0,0,1] neg_hi:[0,0,1]
	v_pk_mul_f32 v[44:45], v[114:115], v[156:157]
	v_mov_b32_e32 v73, v89
	v_pk_fma_f32 v[158:159], v[46:47], v[156:157], v[44:45] op_sel:[0,0,1] op_sel_hi:[1,1,0]
	v_pk_fma_f32 v[156:157], v[46:47], v[156:157], v[44:45] op_sel:[0,0,1] op_sel_hi:[1,1,0] neg_lo:[0,0,1] neg_hi:[0,0,1]
	ds_read2_b64 v[44:47], v76 offset0:104 offset1:164
	v_mov_b32_e32 v159, v157
	v_mov_b32_e32 v43, v25
	v_mov_b32_e32 v23, v19
	v_pk_add_f32 v[18:19], v[20:21], v[42:43]
	s_waitcnt lgkmcnt(0)
	v_pk_mul_f32 v[162:163], v[98:99], v[46:47]
	v_accvgpr_read_b32 v99, a83
	v_accvgpr_read_b32 v97, a81
	;; [unrolled: 1-line block ×3, first 2 shown]
	v_pk_fma_f32 v[86:87], v[48:49], v[46:47], v[162:163] op_sel:[0,0,1] op_sel_hi:[1,1,0]
	v_pk_fma_f32 v[48:49], v[48:49], v[46:47], v[162:163] op_sel:[0,0,1] op_sel_hi:[1,1,0] neg_lo:[0,0,1] neg_hi:[0,0,1]
	v_pk_mul_f32 v[46:47], v[96:97], v[44:45]
	v_accvgpr_read_b32 v98, a82
	v_pk_fma_f32 v[162:163], v[50:51], v[44:45], v[46:47] op_sel:[0,0,1] op_sel_hi:[1,1,0]
	v_pk_fma_f32 v[50:51], v[50:51], v[44:45], v[46:47] op_sel:[0,0,1] op_sel_hi:[1,1,0] neg_lo:[0,0,1] neg_hi:[0,0,1]
	v_mov_b32_e32 v87, v49
	v_add_u32_e32 v50, 0x1400, v216
	ds_read2_b64 v[44:47], v50 offset0:80 offset1:140
	v_mov_b32_e32 v163, v51
	v_pk_add_f32 v[24:25], v[20:21], v[42:43] neg_lo:[0,1] neg_hi:[0,1]
	v_pk_add_f32 v[20:21], v[146:147], v[20:21]
	v_fmac_f32_e32 v146, -0.5, v18
	s_waitcnt lgkmcnt(0)
	v_pk_mul_f32 v[160:161], v[100:101], v[46:47]
	v_accvgpr_read_b32 v103, a79
	v_pk_fma_f32 v[164:165], v[28:29], v[46:47], v[160:161] op_sel:[0,0,1] op_sel_hi:[1,1,0]
	v_pk_fma_f32 v[28:29], v[28:29], v[46:47], v[160:161] op_sel:[0,0,1] op_sel_hi:[1,1,0] neg_lo:[0,0,1] neg_hi:[0,0,1]
	v_pk_mul_f32 v[46:47], v[98:99], v[44:45]
	v_accvgpr_read_b32 v101, a77
	v_pk_fma_f32 v[160:161], v[64:65], v[44:45], v[46:47] op_sel:[0,0,1] op_sel_hi:[1,1,0]
	v_pk_fma_f32 v[64:65], v[64:65], v[44:45], v[46:47] op_sel:[0,0,1] op_sel_hi:[1,1,0] neg_lo:[0,0,1] neg_hi:[0,0,1]
	ds_read2_b64 v[44:47], v70 offset0:56 offset1:116
	v_accvgpr_read_b32 v100, a76
	v_accvgpr_read_b32 v102, a78
	v_mov_b32_e32 v161, v65
	v_mov_b32_e32 v165, v29
	s_waitcnt lgkmcnt(0)
	v_pk_mul_f32 v[96:97], v[100:101], v[46:47]
	v_fmac_f32_e32 v27, -0.5, v19
	v_pk_fma_f32 v[98:99], v[32:33], v[46:47], v[96:97] op_sel:[0,0,1] op_sel_hi:[1,1,0]
	v_pk_fma_f32 v[96:97], v[32:33], v[46:47], v[96:97] op_sel:[0,0,1] op_sel_hi:[1,1,0] neg_lo:[0,0,1] neg_hi:[0,0,1]
	v_pk_mul_f32 v[32:33], v[110:111], v[44:45]
	v_mov_b32_e32 v99, v97
	v_pk_fma_f32 v[100:101], v[52:53], v[44:45], v[32:33] op_sel:[0,0,1] op_sel_hi:[1,1,0]
	v_pk_fma_f32 v[52:53], v[52:53], v[44:45], v[32:33] op_sel:[0,0,1] op_sel_hi:[1,1,0] neg_lo:[0,0,1] neg_hi:[0,0,1]
	ds_read2_b64 v[44:47], v152 offset0:160 offset1:220
	v_mov_b32_e32 v101, v53
	v_pk_add_f32 v[18:19], v[30:31], v[22:23] neg_lo:[0,1] neg_hi:[0,1]
	v_pk_add_f32 v[20:21], v[20:21], v[42:43]
	v_pk_mul_f32 v[18:19], v[18:19], s[8:9] op_sel_hi:[1,0]
	s_waitcnt lgkmcnt(0)
	v_pk_mul_f32 v[32:33], v[102:103], v[46:47]
	s_nop 0
	v_pk_fma_f32 v[102:103], v[34:35], v[46:47], v[32:33] op_sel:[0,0,1] op_sel_hi:[1,1,0]
	v_pk_fma_f32 v[104:105], v[34:35], v[46:47], v[32:33] op_sel:[0,0,1] op_sel_hi:[1,1,0] neg_lo:[0,0,1] neg_hi:[0,0,1]
	v_pk_mul_f32 v[32:33], v[112:113], v[44:45]
	v_mov_b32_e32 v103, v105
	v_pk_fma_f32 v[46:47], v[66:67], v[44:45], v[32:33] op_sel:[0,0,1] op_sel_hi:[1,1,0]
	v_pk_fma_f32 v[44:45], v[66:67], v[44:45], v[32:33] op_sel:[0,0,1] op_sel_hi:[1,1,0] neg_lo:[0,0,1] neg_hi:[0,0,1]
	ds_read2_b64 v[32:35], v154 offset0:8 offset1:68
	v_mov_b32_e32 v47, v45
	v_pk_add_f32 v[28:29], v[164:165], v[102:103]
	s_waitcnt lgkmcnt(0)
	v_pk_mul_f32 v[66:67], v[106:107], v[34:35]
	s_nop 0
	v_pk_fma_f32 v[106:107], v[36:37], v[34:35], v[66:67] op_sel:[0,0,1] op_sel_hi:[1,1,0]
	v_pk_fma_f32 v[36:37], v[36:37], v[34:35], v[66:67] op_sel:[0,0,1] op_sel_hi:[1,1,0] neg_lo:[0,0,1] neg_hi:[0,0,1]
	v_pk_mul_f32 v[34:35], v[108:109], v[32:33]
	v_mov_b32_e32 v107, v37
	v_pk_fma_f32 v[66:67], v[54:55], v[32:33], v[34:35] op_sel:[0,0,1] op_sel_hi:[1,1,0]
	v_pk_fma_f32 v[32:33], v[54:55], v[32:33], v[34:35] op_sel:[0,0,1] op_sel_hi:[1,1,0] neg_lo:[0,0,1] neg_hi:[0,0,1]
	v_pk_add_f32 v[34:35], v[162:163], v[100:101]
	v_mov_b32_e32 v67, v33
	v_pk_add_f32 v[32:33], v[100:101], v[66:67]
	v_pk_add_f32 v[64:65], v[100:101], v[66:67] neg_lo:[0,1] neg_hi:[0,1]
	v_pk_add_f32 v[100:101], v[34:35], v[66:67]
	v_fmac_f32_e32 v162, -0.5, v32
	v_fmac_f32_e32 v51, -0.5, v33
	ds_read2_b64 v[32:35], v216 offset1:60
	v_fmamk_f32 v0, v64, 0x3f5db3d7, v51
	v_fmac_f32_e32 v51, 0xbf5db3d7, v64
	v_pk_add_f32 v[36:37], v[98:99], v[106:107] neg_lo:[0,1] neg_hi:[0,1]
	s_waitcnt lgkmcnt(0)
	v_pk_add_f32 v[44:45], v[32:33], v[160:161]
	s_nop 0
	v_pk_add_f32 v[66:67], v[44:45], v[46:47]
	v_pk_add_f32 v[44:45], v[160:161], v[46:47]
	v_pk_add_f32 v[46:47], v[160:161], v[46:47] neg_lo:[0,1] neg_hi:[0,1]
	v_pk_fma_f32 v[32:33], v[44:45], 0.5, v[32:33] op_sel_hi:[1,0,1] neg_lo:[1,0,0] neg_hi:[1,0,0]
	v_pk_mul_f32 v[44:45], v[46:47], s[8:9] op_sel_hi:[1,0]
	v_pk_add_f32 v[112:113], v[66:67], v[100:101]
	v_pk_add_f32 v[160:161], v[32:33], v[44:45] op_sel:[0,1] op_sel_hi:[1,0] neg_lo:[0,1] neg_hi:[0,1]
	v_pk_add_f32 v[32:33], v[32:33], v[44:45] op_sel:[0,1] op_sel_hi:[1,0]
	v_pk_mul_f32 v[44:45], v[0:1], s[8:9] op_sel_hi:[0,1]
	v_fmamk_f32 v0, v65, 0xbf5db3d7, v162
	v_pk_fma_f32 v[108:109], v[0:1], s[12:13], v[44:45] neg_lo:[0,0,1] neg_hi:[0,0,1]
	v_pk_fma_f32 v[44:45], v[0:1], s[12:13], v[44:45] op_sel_hi:[0,1,1]
	v_mov_b32_e32 v0, v51
	v_fmac_f32_e32 v162, 0x3f5db3d7, v65
	v_pk_mul_f32 v[64:65], v[0:1], s[8:9] op_sel_hi:[0,1]
	v_mov_b32_e32 v111, v33
	v_pk_fma_f32 v[64:65], v[162:163], s[0:1], v[64:65] op_sel_hi:[0,1,1] neg_lo:[0,0,1] neg_hi:[0,0,1]
	v_mov_b32_e32 v33, v161
	v_mov_b32_e32 v109, v45
	;; [unrolled: 1-line block ×3, first 2 shown]
	v_pk_add_f32 v[66:67], v[66:67], v[100:101] neg_lo:[0,1] neg_hi:[0,1]
	v_pk_add_f32 v[100:101], v[32:33], v[64:65]
	ds_read2_b64 v[44:47], v88 offset0:112 offset1:172
	ds_read2_b64 v[52:55], v216 offset0:120 offset1:180
	s_waitcnt lgkmcnt(0)
	; wave barrier
	s_waitcnt lgkmcnt(0)
	ds_write2_b64 v3, v[100:101], v[66:67] offset0:20 offset1:30
	v_pk_add_f32 v[66:67], v[110:111], v[108:109] neg_lo:[0,1] neg_hi:[0,1]
	v_pk_add_f32 v[32:33], v[32:33], v[64:65] neg_lo:[0,1] neg_hi:[0,1]
	ds_write2_b64 v3, v[66:67], v[32:33] offset0:40 offset1:50
	v_pk_fma_f32 v[28:29], v[28:29], 0.5, v[34:35] op_sel_hi:[1,0,1] neg_lo:[1,0,0] neg_hi:[1,0,0]
	v_pk_add_f32 v[32:33], v[34:35], v[164:165]
	v_pk_add_f32 v[34:35], v[98:99], v[106:107]
	;; [unrolled: 1-line block ×3, first 2 shown]
	v_fmac_f32_e32 v86, -0.5, v34
	v_fmac_f32_e32 v49, -0.5, v35
	v_pk_add_f32 v[34:35], v[164:165], v[102:103] neg_lo:[0,1] neg_hi:[0,1]
	v_fmamk_f32 v0, v36, 0x3f5db3d7, v49
	v_pk_mul_f32 v[34:35], v[34:35], s[8:9] op_sel_hi:[1,0]
	v_fmac_f32_e32 v49, 0xbf5db3d7, v36
	v_pk_add_f32 v[66:67], v[28:29], v[34:35] op_sel:[0,1] op_sel_hi:[1,0] neg_lo:[0,1] neg_hi:[0,1]
	v_pk_add_f32 v[28:29], v[28:29], v[34:35] op_sel:[0,1] op_sel_hi:[1,0]
	v_pk_mul_f32 v[34:35], v[0:1], s[8:9] op_sel_hi:[0,1]
	v_fmamk_f32 v0, v37, 0xbf5db3d7, v86
	v_pk_fma_f32 v[96:97], v[0:1], s[12:13], v[34:35] neg_lo:[0,0,1] neg_hi:[0,0,1]
	v_pk_fma_f32 v[34:35], v[0:1], s[12:13], v[34:35] op_sel_hi:[0,1,1]
	v_mov_b32_e32 v0, v49
	v_fmac_f32_e32 v86, 0x3f5db3d7, v37
	v_pk_mul_f32 v[36:37], v[0:1], s[8:9] op_sel_hi:[0,1]
	v_pk_add_f32 v[114:115], v[110:111], v[108:109]
	v_pk_add_f32 v[64:65], v[64:65], v[106:107]
	;; [unrolled: 1-line block ×3, first 2 shown]
	v_mov_b32_e32 v97, v35
	v_mov_b32_e32 v35, v29
	v_pk_fma_f32 v[36:37], v[86:87], s[0:1], v[36:37] op_sel_hi:[0,1,1] neg_lo:[0,0,1] neg_hi:[0,0,1]
	v_mov_b32_e32 v29, v67
	ds_write2_b64 v3, v[112:113], v[114:115] offset1:10
	v_mov_b32_e32 v34, v66
	v_pk_add_f32 v[98:99], v[32:33], v[64:65]
	v_accvgpr_read_b32 v3, a109
	v_pk_add_f32 v[32:33], v[32:33], v[64:65] neg_lo:[0,1] neg_hi:[0,1]
	v_pk_add_f32 v[48:49], v[28:29], v[36:37]
	ds_write2_b64 v3, v[48:49], v[32:33] offset0:20 offset1:30
	v_pk_add_f32 v[32:33], v[34:35], v[96:97] neg_lo:[0,1] neg_hi:[0,1]
	v_pk_add_f32 v[28:29], v[28:29], v[36:37] neg_lo:[0,1] neg_hi:[0,1]
	v_pk_add_f32 v[100:101], v[34:35], v[96:97]
	ds_write2_b64 v3, v[32:33], v[28:29] offset0:40 offset1:50
	v_pk_add_f32 v[28:29], v[74:75], v[158:159]
	ds_write2_b64 v3, v[98:99], v[100:101] offset1:10
	v_mov_b32_e32 v3, v1
	v_pk_add_f32 v[32:33], v[74:75], v[158:159] neg_lo:[0,1] neg_hi:[0,1]
	v_fmac_f32_e32 v1, -0.5, v29
	v_pk_add_f32 v[36:37], v[68:69], v[72:73]
	v_pk_add_f32 v[48:49], v[68:69], v[72:73] neg_lo:[0,1] neg_hi:[0,1]
	v_pk_add_f32 v[34:35], v[2:3], v[74:75]
	v_fmac_f32_e32 v2, -0.5, v28
	v_pk_fma_f32 v[36:37], v[36:37], 0.5, v[52:53] op_sel_hi:[1,0,1] neg_lo:[1,0,0] neg_hi:[1,0,0]
	v_pk_mul_f32 v[48:49], v[48:49], s[8:9] op_sel_hi:[1,0]
	v_fmamk_f32 v0, v32, 0x3f5db3d7, v1
	v_pk_add_f32 v[28:29], v[52:53], v[68:69]
	v_pk_add_f32 v[52:53], v[36:37], v[48:49] op_sel:[0,1] op_sel_hi:[1,0] neg_lo:[0,1] neg_hi:[0,1]
	v_pk_add_f32 v[36:37], v[36:37], v[48:49] op_sel:[0,1] op_sel_hi:[1,0]
	v_pk_mul_f32 v[48:49], v[0:1], s[8:9] op_sel_hi:[0,1]
	v_fmamk_f32 v0, v33, 0xbf5db3d7, v2
	v_pk_fma_f32 v[64:65], v[0:1], s[12:13], v[48:49] neg_lo:[0,0,1] neg_hi:[0,0,1]
	v_pk_fma_f32 v[48:49], v[0:1], s[12:13], v[48:49] op_sel_hi:[0,1,1]
	v_fmac_f32_e32 v1, 0xbf5db3d7, v32
	v_mov_b32_e32 v0, v1
	v_fmac_f32_e32 v2, 0x3f5db3d7, v33
	v_pk_mul_f32 v[0:1], v[0:1], s[8:9] op_sel_hi:[0,1]
	v_pk_add_f32 v[34:35], v[34:35], v[158:159]
	v_pk_add_f32 v[28:29], v[28:29], v[72:73]
	v_mov_b32_e32 v65, v49
	v_mov_b32_e32 v49, v37
	v_pk_fma_f32 v[0:1], v[2:3], s[0:1], v[0:1] op_sel_hi:[0,1,1] neg_lo:[0,0,1] neg_hi:[0,0,1]
	v_mov_b32_e32 v37, v53
	v_mov_b32_e32 v48, v52
	v_pk_add_f32 v[66:67], v[28:29], v[34:35]
	v_pk_add_f32 v[2:3], v[28:29], v[34:35] neg_lo:[0,1] neg_hi:[0,1]
	v_pk_add_f32 v[28:29], v[36:37], v[0:1]
	ds_write2_b64 v8, v[28:29], v[2:3] offset0:20 offset1:30
	v_pk_add_f32 v[2:3], v[48:49], v[64:65] neg_lo:[0,1] neg_hi:[0,1]
	v_pk_add_f32 v[0:1], v[36:37], v[0:1] neg_lo:[0,1] neg_hi:[0,1]
	v_pk_add_f32 v[68:69], v[48:49], v[64:65]
	ds_write2_b64 v8, v[2:3], v[0:1] offset0:40 offset1:50
	v_pk_add_f32 v[0:1], v[30:31], v[22:23]
	ds_write2_b64 v8, v[66:67], v[68:69] offset1:10
	v_pk_fma_f32 v[0:1], v[0:1], 0.5, v[54:55] op_sel_hi:[1,0,1] neg_lo:[1,0,0] neg_hi:[1,0,0]
	v_pk_add_f32 v[2:3], v[54:55], v[30:31]
	v_fmamk_f32 v8, v24, 0x3f5db3d7, v27
	v_pk_add_f32 v[2:3], v[2:3], v[22:23]
	v_pk_add_f32 v[22:23], v[0:1], v[18:19] op_sel:[0,1] op_sel_hi:[1,0] neg_lo:[0,1] neg_hi:[0,1]
	v_pk_add_f32 v[0:1], v[0:1], v[18:19] op_sel:[0,1] op_sel_hi:[1,0]
	v_pk_mul_f32 v[18:19], v[8:9], s[8:9] op_sel_hi:[0,1]
	v_fmamk_f32 v8, v25, 0xbf5db3d7, v146
	v_fmac_f32_e32 v27, 0xbf5db3d7, v24
	v_pk_fma_f32 v[28:29], v[8:9], s[12:13], v[18:19] neg_lo:[0,0,1] neg_hi:[0,0,1]
	v_pk_fma_f32 v[18:19], v[8:9], s[12:13], v[18:19] op_sel_hi:[0,1,1]
	v_mov_b32_e32 v8, v27
	v_fmac_f32_e32 v146, 0x3f5db3d7, v25
	v_pk_mul_f32 v[24:25], v[8:9], s[8:9] op_sel_hi:[0,1]
	v_mov_b32_e32 v29, v19
	v_mov_b32_e32 v19, v1
	v_pk_fma_f32 v[24:25], v[146:147], s[0:1], v[24:25] op_sel_hi:[0,1,1] neg_lo:[0,0,1] neg_hi:[0,0,1]
	v_mov_b32_e32 v1, v23
	v_mov_b32_e32 v18, v22
	v_pk_add_f32 v[30:31], v[2:3], v[20:21]
	v_pk_add_f32 v[2:3], v[2:3], v[20:21] neg_lo:[0,1] neg_hi:[0,1]
	v_pk_add_f32 v[20:21], v[0:1], v[24:25]
	ds_write2_b64 v11, v[20:21], v[2:3] offset0:20 offset1:30
	v_pk_add_f32 v[2:3], v[18:19], v[28:29] neg_lo:[0,1] neg_hi:[0,1]
	v_pk_add_f32 v[0:1], v[0:1], v[24:25] neg_lo:[0,1] neg_hi:[0,1]
	ds_write2_b64 v11, v[2:3], v[0:1] offset0:40 offset1:50
	v_pk_add_f32 v[0:1], v[148:149], v[90:91]
	v_pk_add_f32 v[2:3], v[148:149], v[90:91] neg_lo:[0,1] neg_hi:[0,1]
	v_pk_fma_f32 v[0:1], v[0:1], 0.5, v[44:45] op_sel_hi:[1,0,1] neg_lo:[1,0,0] neg_hi:[1,0,0]
	v_pk_mul_f32 v[2:3], v[2:3], s[8:9] op_sel_hi:[1,0]
	v_pk_add_f32 v[32:33], v[18:19], v[28:29]
	v_pk_add_f32 v[18:19], v[0:1], v[2:3] op_sel:[0,1] op_sel_hi:[1,0] neg_lo:[0,1] neg_hi:[0,1]
	v_pk_add_f32 v[0:1], v[2:3], v[0:1] op_sel:[1,0] op_sel_hi:[0,1]
	v_pk_add_f32 v[2:3], v[80:81], v[144:145]
	ds_write2_b64 v11, v[30:31], v[32:33] offset1:10
	v_fmac_f32_e32 v85, -0.5, v3
	v_pk_add_f32 v[20:21], v[92:93], v[80:81]
	v_fmac_f32_e32 v92, -0.5, v2
	v_fmamk_f32 v11, v16, 0x3f5db3d7, v85
	v_fmamk_f32 v8, v17, 0xbf5db3d7, v92
	v_mul_f32_e32 v13, 0xbf5db3d7, v11
	v_mul_f32_e32 v11, 0.5, v11
	v_fmac_f32_e32 v85, 0xbf5db3d7, v16
	v_pk_add_f32 v[2:3], v[44:45], v[148:149]
	v_fmac_f32_e32 v13, 0.5, v8
	v_fmac_f32_e32 v11, 0x3f5db3d7, v8
	v_mov_b32_e32 v8, v85
	v_pk_add_f32 v[20:21], v[20:21], v[144:145]
	v_pk_add_f32 v[2:3], v[2:3], v[90:91]
	v_fmac_f32_e32 v92, 0x3f5db3d7, v17
	v_pk_mul_f32 v[16:17], v[8:9], s[8:9] op_sel_hi:[0,1]
	v_add_f32_e32 v22, v18, v13
	v_add_f32_e32 v23, v1, v11
	v_pk_add_f32 v[24:25], v[2:3], v[20:21]
	v_pk_fma_f32 v[16:17], v[92:93], s[0:1], v[16:17] op_sel_hi:[0,1,1] neg_lo:[0,0,1] neg_hi:[0,0,1]
	v_pk_add_f32 v[2:3], v[2:3], v[20:21] neg_lo:[0,1] neg_hi:[0,1]
	v_mov_b32_e32 v20, v0
	v_mov_b32_e32 v21, v19
	ds_write2_b64 v15, v[24:25], v[22:23] offset1:10
	v_pk_add_f32 v[22:23], v[20:21], v[16:17]
	ds_write2_b64 v15, v[22:23], v[2:3] offset0:20 offset1:30
	v_sub_f32_e32 v0, v18, v13
	v_sub_f32_e32 v1, v1, v11
	v_pk_add_f32 v[2:3], v[20:21], v[16:17] neg_lo:[0,1] neg_hi:[0,1]
	v_accvgpr_read_b32 v13, a69
	ds_write2_b64 v15, v[0:1], v[2:3] offset0:40 offset1:50
	v_pk_add_f32 v[0:1], v[94:95], v[12:13]
	v_pk_add_f32 v[16:17], v[94:95], v[12:13] neg_lo:[0,1] neg_hi:[0,1]
	v_pk_fma_f32 v[0:1], v[0:1], 0.5, v[46:47] op_sel_hi:[1,0,1] neg_lo:[1,0,0] neg_hi:[1,0,0]
	v_pk_mul_f32 v[16:17], v[16:17], s[8:9] op_sel_hi:[1,0]
	v_accvgpr_read_b32 v11, a71
	v_pk_add_f32 v[18:19], v[0:1], v[16:17] op_sel:[0,1] op_sel_hi:[1,0] neg_lo:[0,1] neg_hi:[0,1]
	v_pk_add_f32 v[0:1], v[16:17], v[0:1] op_sel:[1,0] op_sel_hi:[0,1]
	v_pk_add_f32 v[16:17], v[82:83], v[10:11]
	v_pk_add_f32 v[2:3], v[46:47], v[94:95]
	v_mov_b32_e32 v15, v9
	v_pk_add_f32 v[20:21], v[82:83], v[10:11] neg_lo:[0,1] neg_hi:[0,1]
	v_fmac_f32_e32 v9, -0.5, v17
	v_pk_add_f32 v[22:23], v[14:15], v[82:83]
	v_fmac_f32_e32 v14, -0.5, v16
	v_pk_add_f32 v[2:3], v[2:3], v[12:13]
	v_fmamk_f32 v12, v20, 0x3f5db3d7, v9
	v_pk_add_f32 v[10:11], v[22:23], v[10:11]
	v_fmamk_f32 v8, v21, 0xbf5db3d7, v14
	v_mul_f32_e32 v15, 0xbf5db3d7, v12
	v_mul_f32_e32 v22, 0.5, v12
	v_fmac_f32_e32 v9, 0xbf5db3d7, v20
	v_fmac_f32_e32 v15, 0.5, v8
	v_fmac_f32_e32 v22, 0x3f5db3d7, v8
	v_mov_b32_e32 v8, v9
	v_fmac_f32_e32 v14, 0x3f5db3d7, v21
	v_pk_mul_f32 v[8:9], v[8:9], s[8:9] op_sel_hi:[0,1]
	v_add_f32_e32 v12, v18, v15
	v_add_f32_e32 v13, v1, v22
	v_pk_add_f32 v[16:17], v[2:3], v[10:11]
	v_accvgpr_read_b32 v23, a23
	v_pk_fma_f32 v[8:9], v[14:15], s[0:1], v[8:9] op_sel_hi:[0,1,1] neg_lo:[0,0,1] neg_hi:[0,0,1]
	v_pk_add_f32 v[2:3], v[2:3], v[10:11] neg_lo:[0,1] neg_hi:[0,1]
	v_mov_b32_e32 v10, v0
	v_mov_b32_e32 v11, v19
	ds_write2_b64 v23, v[16:17], v[12:13] offset1:10
	v_pk_add_f32 v[12:13], v[10:11], v[8:9]
	ds_write2_b64 v23, v[12:13], v[2:3] offset0:20 offset1:30
	v_sub_f32_e32 v0, v18, v15
	v_sub_f32_e32 v1, v1, v22
	v_pk_add_f32 v[2:3], v[10:11], v[8:9] neg_lo:[0,1] neg_hi:[0,1]
	ds_write2_b64 v23, v[0:1], v[2:3] offset0:40 offset1:50
	s_waitcnt lgkmcnt(0)
	; wave barrier
	s_waitcnt lgkmcnt(0)
	ds_read2_b64 v[0:3], v50 offset0:80 offset1:140
	v_accvgpr_read_b32 v12, a134
	v_accvgpr_read_b32 v13, a135
	;; [unrolled: 1-line block ×4, first 2 shown]
	s_waitcnt lgkmcnt(0)
	v_pk_mul_f32 v[10:11], v[12:13], v[0:1]
	v_accvgpr_read_b32 v32, a154
	v_pk_fma_f32 v[8:9], v[62:63], v[0:1], v[10:11] op_sel:[0,0,1] op_sel_hi:[1,1,0]
	v_pk_fma_f32 v[0:1], v[62:63], v[0:1], v[10:11] op_sel:[0,0,1] op_sel_hi:[1,1,0] neg_lo:[0,0,1] neg_hi:[0,0,1]
	v_pk_mul_f32 v[10:11], v[12:13], v[2:3]
	v_accvgpr_read_b32 v34, a156
	v_pk_fma_f32 v[64:65], v[62:63], v[2:3], v[10:11] op_sel:[0,0,1] op_sel_hi:[1,1,0]
	v_pk_fma_f32 v[62:63], v[62:63], v[2:3], v[10:11] op_sel:[0,0,1] op_sel_hi:[1,1,0] neg_lo:[0,0,1] neg_hi:[0,0,1]
	ds_read2_b64 v[10:13], v76 offset0:104 offset1:164
	v_accvgpr_read_b32 v35, a157
	v_accvgpr_read_b32 v16, a144
	;; [unrolled: 1-line block ×4, first 2 shown]
	s_waitcnt lgkmcnt(0)
	v_pk_mul_f32 v[2:3], v[14:15], v[10:11]
	ds_read2_b64 v[28:31], v79 offset0:88 offset1:148
	v_pk_fma_f32 v[66:67], v[60:61], v[10:11], v[2:3] op_sel:[0,0,1] op_sel_hi:[1,1,0]
	v_pk_fma_f32 v[68:69], v[60:61], v[10:11], v[2:3] op_sel:[0,0,1] op_sel_hi:[1,1,0] neg_lo:[0,0,1] neg_hi:[0,0,1]
	v_pk_mul_f32 v[2:3], v[14:15], v[12:13]
	v_accvgpr_read_b32 v14, a130
	v_pk_fma_f32 v[72:73], v[60:61], v[12:13], v[2:3] op_sel:[0,0,1] op_sel_hi:[1,1,0]
	v_pk_fma_f32 v[60:61], v[60:61], v[12:13], v[2:3] op_sel:[0,0,1] op_sel_hi:[1,1,0] neg_lo:[0,0,1] neg_hi:[0,0,1]
	ds_read2_b64 v[10:13], v152 offset0:160 offset1:220
	v_accvgpr_read_b32 v15, a131
	v_accvgpr_read_b32 v24, a150
	;; [unrolled: 1-line block ×4, first 2 shown]
	s_waitcnt lgkmcnt(0)
	v_pk_mul_f32 v[2:3], v[14:15], v[10:11]
	v_accvgpr_read_b32 v33, a155
	v_pk_fma_f32 v[74:75], v[58:59], v[10:11], v[2:3] op_sel:[0,0,1] op_sel_hi:[1,1,0]
	v_pk_fma_f32 v[80:81], v[58:59], v[10:11], v[2:3] op_sel:[0,0,1] op_sel_hi:[1,1,0] neg_lo:[0,0,1] neg_hi:[0,0,1]
	v_pk_mul_f32 v[2:3], v[14:15], v[12:13]
	v_accvgpr_read_b32 v14, a128
	v_pk_fma_f32 v[82:83], v[58:59], v[12:13], v[2:3] op_sel:[0,0,1] op_sel_hi:[1,1,0]
	v_pk_fma_f32 v[86:87], v[58:59], v[12:13], v[2:3] op_sel:[0,0,1] op_sel_hi:[1,1,0] neg_lo:[0,0,1] neg_hi:[0,0,1]
	ds_read2_b64 v[10:13], v70 offset0:56 offset1:116
	v_accvgpr_read_b32 v15, a129
	v_accvgpr_read_b32 v17, a145
	;; [unrolled: 1-line block ×3, first 2 shown]
	ds_read2_b64 v[52:55], v84 offset0:120 offset1:180
	s_waitcnt lgkmcnt(1)
	v_pk_mul_f32 v[2:3], v[14:15], v[10:11]
	v_accvgpr_read_b32 v100, a124
	v_pk_fma_f32 v[58:59], v[56:57], v[10:11], v[2:3] op_sel:[0,0,1] op_sel_hi:[1,1,0]
	v_pk_fma_f32 v[90:91], v[56:57], v[10:11], v[2:3] op_sel:[0,0,1] op_sel_hi:[1,1,0] neg_lo:[0,0,1] neg_hi:[0,0,1]
	v_pk_mul_f32 v[2:3], v[14:15], v[12:13]
	v_accvgpr_read_b32 v101, a125
	v_pk_fma_f32 v[92:93], v[56:57], v[12:13], v[2:3] op_sel:[0,0,1] op_sel_hi:[1,1,0]
	v_pk_fma_f32 v[94:95], v[56:57], v[12:13], v[2:3] op_sel:[0,0,1] op_sel_hi:[1,1,0] neg_lo:[0,0,1] neg_hi:[0,0,1]
	ds_read2_b64 v[10:13], v78 offset0:192 offset1:252
	v_accvgpr_read_b32 v104, a116
	v_accvgpr_read_b32 v105, a117
	;; [unrolled: 1-line block ×4, first 2 shown]
	s_waitcnt lgkmcnt(0)
	v_pk_mul_f32 v[2:3], v[34:35], v[12:13]
	v_accvgpr_read_b32 v34, a140
	v_pk_fma_f32 v[20:21], v[222:223], v[12:13], v[2:3] op_sel:[0,0,1] op_sel_hi:[1,1,0]
	v_pk_fma_f32 v[42:43], v[222:223], v[12:13], v[2:3] op_sel:[0,0,1] op_sel_hi:[1,1,0] neg_lo:[0,0,1] neg_hi:[0,0,1]
	v_pk_mul_f32 v[2:3], v[18:19], v[10:11]
	v_accvgpr_read_b32 v36, a142
	v_pk_fma_f32 v[14:15], v[252:253], v[10:11], v[2:3] op_sel:[0,0,1] op_sel_hi:[1,1,0]
	v_pk_fma_f32 v[18:19], v[252:253], v[10:11], v[2:3] op_sel:[0,0,1] op_sel_hi:[1,1,0] neg_lo:[0,0,1] neg_hi:[0,0,1]
	ds_read2_b64 v[10:13], v150 offset0:144 offset1:204
	v_accvgpr_read_b32 v37, a143
	v_accvgpr_read_b32 v35, a141
	;; [unrolled: 1-line block ×4, first 2 shown]
	s_waitcnt lgkmcnt(0)
	v_pk_mul_f32 v[2:3], v[26:27], v[12:13]
	v_accvgpr_read_b32 v147, a115
	v_pk_fma_f32 v[26:27], v[246:247], v[12:13], v[2:3] op_sel:[0,0,1] op_sel_hi:[1,1,0]
	v_pk_fma_f32 v[44:45], v[246:247], v[12:13], v[2:3] op_sel:[0,0,1] op_sel_hi:[1,1,0] neg_lo:[0,0,1] neg_hi:[0,0,1]
	v_pk_mul_f32 v[2:3], v[36:37], v[10:11]
	v_accvgpr_read_b32 v145, a113
	v_pk_fma_f32 v[12:13], v[250:251], v[10:11], v[2:3] op_sel:[0,0,1] op_sel_hi:[1,1,0]
	v_pk_fma_f32 v[22:23], v[250:251], v[10:11], v[2:3] op_sel:[0,0,1] op_sel_hi:[1,1,0] neg_lo:[0,0,1] neg_hi:[0,0,1]
	;; [unrolled: 4-line block ×4, first 2 shown]
	ds_read2_b64 v[28:31], v152 offset0:40 offset1:100
	v_mov_b32_e32 v59, v91
	v_mov_b32_e32 v67, v69
	;; [unrolled: 1-line block ×4, first 2 shown]
	s_waitcnt lgkmcnt(0)
	v_pk_mul_f32 v[2:3], v[24:25], v[30:31]
	v_mov_b32_e32 v65, v63
	v_pk_fma_f32 v[38:39], v[220:221], v[30:31], v[2:3] op_sel:[0,0,1] op_sel_hi:[1,1,0]
	v_pk_fma_f32 v[46:47], v[220:221], v[30:31], v[2:3] op_sel:[0,0,1] op_sel_hi:[1,1,0] neg_lo:[0,0,1] neg_hi:[0,0,1]
	v_pk_mul_f32 v[2:3], v[34:35], v[28:29]
	v_mov_b32_e32 v83, v87
	v_pk_fma_f32 v[24:25], v[242:243], v[28:29], v[2:3] op_sel:[0,0,1] op_sel_hi:[1,1,0]
	v_pk_fma_f32 v[28:29], v[242:243], v[28:29], v[2:3] op_sel:[0,0,1] op_sel_hi:[1,1,0] neg_lo:[0,0,1] neg_hi:[0,0,1]
	v_accvgpr_read_b32 v2, a148
	v_accvgpr_read_b32 v3, a149
	v_pk_mul_f32 v[2:3], v[2:3], v[54:55]
	v_mov_b32_e32 v93, v95
	v_pk_fma_f32 v[40:41], v[234:235], v[54:55], v[2:3] op_sel:[0,0,1] op_sel_hi:[1,1,0]
	v_pk_fma_f32 v[48:49], v[234:235], v[54:55], v[2:3] op_sel:[0,0,1] op_sel_hi:[1,1,0] neg_lo:[0,0,1] neg_hi:[0,0,1]
	v_accvgpr_read_b32 v2, a138
	v_accvgpr_read_b32 v3, a139
	v_pk_mul_f32 v[2:3], v[2:3], v[52:53]
	v_mov_b32_e32 v73, v61
	v_pk_fma_f32 v[30:31], v[240:241], v[52:53], v[2:3] op_sel:[0,0,1] op_sel_hi:[1,1,0]
	v_pk_fma_f32 v[34:35], v[240:241], v[52:53], v[2:3] op_sel:[0,0,1] op_sel_hi:[1,1,0] neg_lo:[0,0,1] neg_hi:[0,0,1]
	ds_read2_b64 v[52:55], v217 offset0:96 offset1:156
	v_mov_b32_e32 v21, v43
	v_mov_b32_e32 v27, v45
	v_pk_add_f32 v[42:43], v[20:21], v[26:27] neg_lo:[0,1] neg_hi:[0,1]
	v_mov_b32_e32 v39, v47
	s_waitcnt lgkmcnt(0)
	v_pk_mul_f32 v[2:3], v[100:101], v[54:55]
	v_pk_mul_f32 v[42:43], v[42:43], s[8:9] op_sel_hi:[1,0]
	v_pk_fma_f32 v[96:97], v[236:237], v[54:55], v[2:3] op_sel:[0,0,1] op_sel_hi:[1,1,0]
	v_pk_fma_f32 v[2:3], v[236:237], v[54:55], v[2:3] op_sel:[0,0,1] op_sel_hi:[1,1,0] neg_lo:[0,0,1] neg_hi:[0,0,1]
	v_pk_mul_f32 v[54:55], v[104:105], v[52:53]
	v_mov_b32_e32 v97, v3
	v_pk_fma_f32 v[98:99], v[230:231], v[52:53], v[54:55] op_sel:[0,0,1] op_sel_hi:[1,1,0]
	v_pk_fma_f32 v[100:101], v[230:231], v[52:53], v[54:55] op_sel:[0,0,1] op_sel_hi:[1,1,0] neg_lo:[0,0,1] neg_hi:[0,0,1]
	ds_read2_b64 v[52:55], v78 offset0:72 offset1:132
	v_mov_b32_e32 v99, v101
	v_mov_b32_e32 v41, v49
	;; [unrolled: 1-line block ×4, first 2 shown]
	s_waitcnt lgkmcnt(0)
	v_pk_mul_f32 v[56:57], v[102:103], v[54:55]
	v_mov_b32_e32 v25, v29
	v_pk_fma_f32 v[102:103], v[6:7], v[54:55], v[56:57] op_sel:[0,0,1] op_sel_hi:[1,1,0]
	v_pk_fma_f32 v[104:105], v[6:7], v[54:55], v[56:57] op_sel:[0,0,1] op_sel_hi:[1,1,0] neg_lo:[0,0,1] neg_hi:[0,0,1]
	v_pk_mul_f32 v[6:7], v[106:107], v[52:53]
	v_mov_b32_e32 v103, v105
	v_pk_fma_f32 v[106:107], v[228:229], v[52:53], v[6:7] op_sel:[0,0,1] op_sel_hi:[1,1,0]
	v_pk_fma_f32 v[108:109], v[228:229], v[52:53], v[6:7] op_sel:[0,0,1] op_sel_hi:[1,1,0] neg_lo:[0,0,1] neg_hi:[0,0,1]
	ds_read2_b64 v[52:55], v70 offset0:176 offset1:236
	v_mov_b32_e32 v107, v109
	v_mov_b32_e32 v31, v35
	;; [unrolled: 1-line block ×3, first 2 shown]
	v_pk_add_f32 v[28:29], v[24:25], v[30:31] neg_lo:[0,1] neg_hi:[0,1]
	s_waitcnt lgkmcnt(0)
	v_pk_mul_f32 v[6:7], v[144:145], v[54:55]
	s_nop 0
	v_pk_fma_f32 v[110:111], v[232:233], v[54:55], v[6:7] op_sel:[0,0,1] op_sel_hi:[1,1,0]
	v_pk_fma_f32 v[112:113], v[232:233], v[54:55], v[6:7] op_sel:[0,0,1] op_sel_hi:[1,1,0] neg_lo:[0,0,1] neg_hi:[0,0,1]
	v_accvgpr_read_b32 v54, a100
	v_accvgpr_read_b32 v55, a101
	v_pk_mul_f32 v[6:7], v[54:55], v[52:53]
	v_accvgpr_read_b32 v56, a102
	v_pk_fma_f32 v[114:115], v[218:219], v[52:53], v[6:7] op_sel:[0,0,1] op_sel_hi:[1,1,0]
	v_pk_fma_f32 v[144:145], v[218:219], v[52:53], v[6:7] op_sel:[0,0,1] op_sel_hi:[1,1,0] neg_lo:[0,0,1] neg_hi:[0,0,1]
	ds_read2_b64 v[52:55], v150 offset0:24 offset1:84
	v_accvgpr_read_b32 v57, a103
	v_mov_b32_e32 v115, v145
	v_mov_b32_e32 v111, v113
	s_waitcnt lgkmcnt(0)
	v_pk_mul_f32 v[6:7], v[146:147], v[54:55]
	s_nop 0
	v_pk_fma_f32 v[146:147], v[224:225], v[54:55], v[6:7] op_sel:[0,0,1] op_sel_hi:[1,1,0]
	v_pk_fma_f32 v[148:149], v[224:225], v[54:55], v[6:7] op_sel:[0,0,1] op_sel_hi:[1,1,0] neg_lo:[0,0,1] neg_hi:[0,0,1]
	v_pk_mul_f32 v[6:7], v[56:57], v[52:53]
	v_accvgpr_read_b32 v56, a88
	v_pk_fma_f32 v[156:157], v[238:239], v[52:53], v[6:7] op_sel:[0,0,1] op_sel_hi:[1,1,0]
	v_pk_fma_f32 v[158:159], v[238:239], v[52:53], v[6:7] op_sel:[0,0,1] op_sel_hi:[1,1,0] neg_lo:[0,0,1] neg_hi:[0,0,1]
	ds_read2_b64 v[52:55], v154 offset0:128 offset1:188
	v_accvgpr_read_b32 v6, a110
	v_accvgpr_read_b32 v7, a111
	;; [unrolled: 1-line block ×3, first 2 shown]
	v_mov_b32_e32 v157, v159
	s_waitcnt lgkmcnt(0)
	v_pk_mul_f32 v[6:7], v[6:7], v[54:55]
	v_mov_b32_e32 v147, v149
	v_pk_fma_f32 v[160:161], v[226:227], v[54:55], v[6:7] op_sel:[0,0,1] op_sel_hi:[1,1,0]
	v_pk_fma_f32 v[162:163], v[226:227], v[54:55], v[6:7] op_sel:[0,0,1] op_sel_hi:[1,1,0] neg_lo:[0,0,1] neg_hi:[0,0,1]
	v_accvgpr_read_b32 v6, a94
	v_accvgpr_read_b32 v7, a95
	v_pk_mul_f32 v[6:7], v[6:7], v[52:53]
	v_mov_b32_e32 v161, v163
	v_pk_fma_f32 v[164:165], v[4:5], v[52:53], v[6:7] op_sel:[0,0,1] op_sel_hi:[1,1,0]
	v_pk_fma_f32 v[218:219], v[4:5], v[52:53], v[6:7] op_sel:[0,0,1] op_sel_hi:[1,1,0] neg_lo:[0,0,1] neg_hi:[0,0,1]
	ds_read2_b64 v[4:7], v154 offset0:8 offset1:68
	v_mov_b32_e32 v165, v219
	s_waitcnt lgkmcnt(0)
	v_pk_mul_f32 v[52:53], v[56:57], v[4:5]
	s_nop 0
	v_pk_fma_f32 v[54:55], v[254:255], v[4:5], v[52:53] op_sel:[0,0,1] op_sel_hi:[1,1,0]
	v_pk_fma_f32 v[4:5], v[254:255], v[4:5], v[52:53] op_sel:[0,0,1] op_sel_hi:[1,1,0] neg_lo:[0,0,1] neg_hi:[0,0,1]
	v_pk_mul_f32 v[52:53], v[56:57], v[6:7]
	v_mov_b32_e32 v55, v5
	v_pk_add_f32 v[4:5], v[66:67], v[58:59]
	v_pk_fma_f32 v[220:221], v[254:255], v[6:7], v[52:53] op_sel:[0,0,1] op_sel_hi:[1,1,0]
	v_pk_fma_f32 v[222:223], v[254:255], v[6:7], v[52:53] op_sel:[0,0,1] op_sel_hi:[1,1,0] neg_lo:[0,0,1] neg_hi:[0,0,1]
	v_pk_add_f32 v[90:91], v[4:5], v[54:55]
	ds_read2_b64 v[4:7], v216 offset1:60
	v_pk_add_f32 v[0:1], v[58:59], v[54:55]
	v_pk_add_f32 v[80:81], v[58:59], v[54:55] neg_lo:[0,1] neg_hi:[0,1]
	v_fmac_f32_e32 v66, -0.5, v0
	v_fmac_f32_e32 v69, -0.5, v1
	s_waitcnt lgkmcnt(0)
	v_pk_add_f32 v[0:1], v[4:5], v[8:9]
	v_pk_add_f32 v[52:53], v[8:9], v[74:75]
	v_pk_add_f32 v[8:9], v[8:9], v[74:75] neg_lo:[0,1] neg_hi:[0,1]
	v_pk_fma_f32 v[4:5], v[52:53], 0.5, v[4:5] op_sel_hi:[1,0,1] neg_lo:[1,0,0] neg_hi:[1,0,0]
	v_pk_mul_f32 v[8:9], v[8:9], s[8:9] op_sel_hi:[1,0]
	v_fmamk_f32 v2, v80, 0x3f5db3d7, v69
	v_pk_add_f32 v[0:1], v[0:1], v[74:75]
	v_pk_add_f32 v[74:75], v[4:5], v[8:9] op_sel:[0,1] op_sel_hi:[1,0] neg_lo:[0,1] neg_hi:[0,1]
	v_pk_add_f32 v[4:5], v[4:5], v[8:9] op_sel:[0,1] op_sel_hi:[1,0]
	v_pk_mul_f32 v[8:9], v[2:3], s[8:9] op_sel_hi:[0,1]
	v_fmamk_f32 v2, v81, 0xbf5db3d7, v66
	v_fmac_f32_e32 v69, 0xbf5db3d7, v80
	v_pk_fma_f32 v[224:225], v[2:3], s[12:13], v[8:9] neg_lo:[0,0,1] neg_hi:[0,0,1]
	v_pk_fma_f32 v[8:9], v[2:3], s[12:13], v[8:9] op_sel_hi:[0,1,1]
	v_mov_b32_e32 v2, v69
	v_fmac_f32_e32 v66, 0x3f5db3d7, v81
	v_pk_mul_f32 v[68:69], v[2:3], s[8:9] op_sel_hi:[0,1]
	v_mov_b32_e32 v225, v9
	v_mov_b32_e32 v8, v74
	;; [unrolled: 1-line block ×3, first 2 shown]
	v_pk_fma_f32 v[66:67], v[66:67], s[0:1], v[68:69] op_sel_hi:[0,1,1] neg_lo:[0,0,1] neg_hi:[0,0,1]
	v_mov_b32_e32 v5, v75
	v_pk_add_f32 v[226:227], v[0:1], v[90:91]
	v_pk_add_f32 v[228:229], v[8:9], v[224:225]
	v_pk_add_f32 v[0:1], v[0:1], v[90:91] neg_lo:[0,1] neg_hi:[0,1]
	v_pk_add_f32 v[68:69], v[4:5], v[66:67]
	ds_read2_b64 v[52:55], v88 offset0:112 offset1:172
	ds_read2_b64 v[56:59], v216 offset0:120 offset1:180
	s_waitcnt lgkmcnt(0)
	; wave barrier
	s_waitcnt lgkmcnt(0)
	ds_write2_b64 v216, v[226:227], v[228:229] offset1:60
	ds_write2_b64 v216, v[68:69], v[0:1] offset0:120 offset1:180
	v_pk_add_f32 v[0:1], v[8:9], v[224:225] neg_lo:[0,1] neg_hi:[0,1]
	v_pk_add_f32 v[4:5], v[4:5], v[66:67] neg_lo:[0,1] neg_hi:[0,1]
	ds_write2_b64 v88, v[0:1], v[4:5] offset0:112 offset1:172
	v_pk_add_f32 v[0:1], v[64:65], v[82:83]
	v_pk_add_f32 v[4:5], v[6:7], v[64:65]
	v_pk_fma_f32 v[0:1], v[0:1], 0.5, v[6:7] op_sel_hi:[1,0,1] neg_lo:[1,0,0] neg_hi:[1,0,0]
	v_pk_add_f32 v[6:7], v[64:65], v[82:83] neg_lo:[0,1] neg_hi:[0,1]
	v_mov_b32_e32 v221, v223
	v_pk_mul_f32 v[6:7], v[6:7], s[8:9] op_sel_hi:[1,0]
	v_pk_add_f32 v[62:63], v[92:93], v[220:221] neg_lo:[0,1] neg_hi:[0,1]
	v_pk_add_f32 v[8:9], v[0:1], v[6:7] op_sel:[0,1] op_sel_hi:[1,0] neg_lo:[0,1] neg_hi:[0,1]
	v_pk_add_f32 v[0:1], v[6:7], v[0:1] op_sel:[1,0] op_sel_hi:[0,1]
	v_pk_add_f32 v[6:7], v[92:93], v[220:221]
	v_pk_add_f32 v[64:65], v[72:73], v[92:93]
	v_fmac_f32_e32 v61, -0.5, v7
	v_fmac_f32_e32 v72, -0.5, v6
	v_fmamk_f32 v6, v62, 0x3f5db3d7, v61
	v_fmamk_f32 v2, v63, 0xbf5db3d7, v72
	v_mul_f32_e32 v10, 0xbf5db3d7, v6
	v_mul_f32_e32 v13, 0.5, v6
	v_pk_add_f32 v[64:65], v[64:65], v[220:221]
	v_pk_add_f32 v[4:5], v[4:5], v[82:83]
	v_fmac_f32_e32 v10, 0.5, v2
	v_fmac_f32_e32 v13, 0x3f5db3d7, v2
	v_fmac_f32_e32 v61, 0xbf5db3d7, v62
	v_add_f32_e32 v6, v8, v10
	v_add_f32_e32 v7, v1, v13
	v_pk_add_f32 v[66:67], v[4:5], v[64:65]
	v_mov_b32_e32 v2, v61
	ds_write2_b64 v76, v[66:67], v[6:7] offset0:104 offset1:164
	v_fmac_f32_e32 v72, 0x3f5db3d7, v63
	v_pk_mul_f32 v[6:7], v[2:3], s[8:9] op_sel_hi:[0,1]
	v_pk_fma_f32 v[6:7], v[72:73], s[0:1], v[6:7] op_sel_hi:[0,1,1] neg_lo:[0,0,1] neg_hi:[0,0,1]
	v_mov_b32_e32 v60, v0
	v_mov_b32_e32 v61, v9
	v_pk_add_f32 v[4:5], v[4:5], v[64:65] neg_lo:[0,1] neg_hi:[0,1]
	v_pk_add_f32 v[62:63], v[60:61], v[6:7]
	ds_write2_b64 v217, v[62:63], v[4:5] offset0:96 offset1:156
	v_sub_f32_e32 v0, v8, v10
	v_sub_f32_e32 v1, v1, v13
	v_pk_add_f32 v[4:5], v[60:61], v[6:7] neg_lo:[0,1] neg_hi:[0,1]
	ds_write2_b64 v79, v[0:1], v[4:5] offset0:88 offset1:148
	v_pk_add_f32 v[0:1], v[114:115], v[164:165]
	v_pk_add_f32 v[4:5], v[114:115], v[164:165] neg_lo:[0,1] neg_hi:[0,1]
	v_fmac_f32_e32 v101, -0.5, v1
	v_pk_add_f32 v[8:9], v[106:107], v[156:157]
	v_pk_add_f32 v[60:61], v[106:107], v[156:157] neg_lo:[0,1] neg_hi:[0,1]
	v_pk_add_f32 v[6:7], v[98:99], v[114:115]
	v_fmac_f32_e32 v98, -0.5, v0
	v_pk_add_f32 v[0:1], v[56:57], v[106:107]
	v_pk_fma_f32 v[8:9], v[8:9], 0.5, v[56:57] op_sel_hi:[1,0,1] neg_lo:[1,0,0] neg_hi:[1,0,0]
	v_pk_mul_f32 v[56:57], v[60:61], s[8:9] op_sel_hi:[1,0]
	v_fmamk_f32 v2, v4, 0x3f5db3d7, v101
	v_pk_add_f32 v[60:61], v[8:9], v[56:57] op_sel:[0,1] op_sel_hi:[1,0] neg_lo:[0,1] neg_hi:[0,1]
	v_pk_add_f32 v[8:9], v[8:9], v[56:57] op_sel:[0,1] op_sel_hi:[1,0]
	v_pk_mul_f32 v[56:57], v[2:3], s[8:9] op_sel_hi:[0,1]
	v_fmamk_f32 v2, v5, 0xbf5db3d7, v98
	v_pk_fma_f32 v[62:63], v[2:3], s[12:13], v[56:57] neg_lo:[0,0,1] neg_hi:[0,0,1]
	v_pk_fma_f32 v[56:57], v[2:3], s[12:13], v[56:57] op_sel_hi:[0,1,1]
	v_pk_add_f32 v[6:7], v[6:7], v[164:165]
	v_pk_add_f32 v[0:1], v[0:1], v[156:157]
	v_mov_b32_e32 v63, v57
	v_mov_b32_e32 v56, v60
	;; [unrolled: 1-line block ×3, first 2 shown]
	v_accvgpr_read_b32 v10, a136
	v_add_u32_e32 v2, 0x1400, v10
	v_pk_add_f32 v[64:65], v[0:1], v[6:7]
	v_pk_add_f32 v[66:67], v[56:57], v[62:63]
	v_fmac_f32_e32 v101, 0xbf5db3d7, v4
	ds_write2_b64 v2, v[64:65], v[66:67] offset0:80 offset1:140
	v_mov_b32_e32 v2, v101
	v_fmac_f32_e32 v98, 0x3f5db3d7, v5
	v_pk_mul_f32 v[4:5], v[2:3], s[8:9] op_sel_hi:[0,1]
	v_pk_fma_f32 v[4:5], v[98:99], s[0:1], v[4:5] op_sel_hi:[0,1,1] neg_lo:[0,0,1] neg_hi:[0,0,1]
	v_mov_b32_e32 v9, v61
	v_pk_add_f32 v[0:1], v[0:1], v[6:7] neg_lo:[0,1] neg_hi:[0,1]
	v_add_u32_e32 v2, 0x1800, v10
	v_pk_add_f32 v[6:7], v[8:9], v[4:5]
	ds_write2_b64 v2, v[6:7], v[0:1] offset0:72 offset1:132
	v_pk_add_f32 v[0:1], v[56:57], v[62:63] neg_lo:[0,1] neg_hi:[0,1]
	v_pk_add_f32 v[4:5], v[8:9], v[4:5] neg_lo:[0,1] neg_hi:[0,1]
	ds_write2_b64 v2, v[0:1], v[4:5] offset0:192 offset1:252
	v_pk_add_f32 v[4:5], v[58:59], v[102:103]
	v_pk_add_f32 v[6:7], v[110:111], v[160:161]
	;; [unrolled: 1-line block ×3, first 2 shown]
	v_pk_add_f32 v[56:57], v[110:111], v[160:161] neg_lo:[0,1] neg_hi:[0,1]
	v_fmac_f32_e32 v3, -0.5, v7
	v_pk_add_f32 v[60:61], v[4:5], v[146:147]
	v_pk_add_f32 v[4:5], v[102:103], v[146:147] neg_lo:[0,1] neg_hi:[0,1]
	v_pk_fma_f32 v[0:1], v[0:1], 0.5, v[58:59] op_sel_hi:[1,0,1] neg_lo:[1,0,0] neg_hi:[1,0,0]
	v_pk_add_f32 v[8:9], v[96:97], v[110:111]
	v_fmac_f32_e32 v96, -0.5, v6
	v_pk_mul_f32 v[4:5], v[4:5], s[8:9] op_sel_hi:[1,0]
	v_fmamk_f32 v2, v56, 0x3f5db3d7, v3
	v_pk_add_f32 v[62:63], v[0:1], v[4:5] op_sel:[0,1] op_sel_hi:[1,0] neg_lo:[0,1] neg_hi:[0,1]
	v_pk_add_f32 v[0:1], v[0:1], v[4:5] op_sel:[0,1] op_sel_hi:[1,0]
	v_pk_mul_f32 v[4:5], v[2:3], s[8:9] op_sel_hi:[0,1]
	v_fmamk_f32 v2, v57, 0xbf5db3d7, v96
	v_pk_fma_f32 v[64:65], v[2:3], s[12:13], v[4:5] neg_lo:[0,0,1] neg_hi:[0,0,1]
	v_pk_fma_f32 v[4:5], v[2:3], s[12:13], v[4:5] op_sel_hi:[0,1,1]
	v_pk_add_f32 v[58:59], v[8:9], v[160:161]
	v_mov_b32_e32 v65, v5
	v_mov_b32_e32 v66, v62
	;; [unrolled: 1-line block ×3, first 2 shown]
	v_accvgpr_read_b32 v62, a86
	v_add_u32_e32 v51, 0x2000, v62
	v_pk_add_f32 v[4:5], v[60:61], v[58:59]
	v_pk_add_f32 v[6:7], v[66:67], v[64:65]
	ds_write2_b64 v51, v[4:5], v[6:7] offset0:56 offset1:116
	v_accvgpr_read_b32 v6, a66
	v_mad_u64_u32 v[4:5], s[14:15], s6, v6, 0
	v_pk_add_f32 v[8:9], v[20:21], v[26:27]
	v_mov_b32_e32 v2, v5
	v_pk_fma_f32 v[8:9], v[8:9], 0.5, v[54:55] op_sel_hi:[1,0,1] neg_lo:[1,0,0] neg_hi:[1,0,0]
	v_mad_u64_u32 v[6:7], s[6:7], s7, v6, v[2:3]
	v_pk_add_f32 v[44:45], v[8:9], v[42:43] op_sel:[0,1] op_sel_hi:[1,0] neg_lo:[0,1] neg_hi:[0,1]
	v_pk_add_f32 v[8:9], v[42:43], v[8:9] op_sel:[1,0] op_sel_hi:[0,1]
	v_pk_add_f32 v[42:43], v[38:39], v[40:41]
	v_mov_b32_e32 v2, v36
	v_fmac_f32_e32 v2, -0.5, v42
	v_fmac_f32_e32 v33, -0.5, v43
	v_pk_add_f32 v[42:43], v[38:39], v[40:41] neg_lo:[0,1] neg_hi:[0,1]
	v_mov_b32_e32 v13, v23
	v_fmamk_f32 v5, v42, 0x3f5db3d7, v33
	v_fmamk_f32 v1, v43, 0xbf5db3d7, v2
	v_mul_f32_e32 v7, 0xbf5db3d7, v5
	v_mul_f32_e32 v5, 0.5, v5
	v_fmac_f32_e32 v7, 0.5, v1
	v_fmac_f32_e32 v5, 0x3f5db3d7, v1
	v_add_f32_e32 v46, v44, v7
	v_add_f32_e32 v47, v9, v5
	v_sub_f32_e32 v48, v44, v7
	v_sub_f32_e32 v49, v9, v5
	v_mov_b32_e32 v44, v8
	v_pk_add_f32 v[8:9], v[36:37], v[38:39]
	v_fmac_f32_e32 v33, 0xbf5db3d7, v42
	v_pk_add_f32 v[36:37], v[8:9], v[40:41]
	v_pk_add_f32 v[8:9], v[54:55], v[20:21]
	v_fmac_f32_e32 v2, 0x3f5db3d7, v43
	v_pk_add_f32 v[20:21], v[8:9], v[26:27]
	v_mov_b32_e32 v8, v33
	v_pk_mul_f32 v[8:9], v[8:9], s[8:9] op_sel_hi:[0,1]
	v_pk_fma_f32 v[26:27], v[2:3], s[0:1], v[8:9] op_sel_hi:[0,1,1] neg_lo:[0,0,1] neg_hi:[0,0,1]
	v_pk_add_f32 v[8:9], v[14:15], v[12:13]
	v_pk_add_f32 v[18:19], v[52:53], v[14:15]
	v_pk_add_f32 v[14:15], v[14:15], v[12:13] neg_lo:[0,1] neg_hi:[0,1]
	v_pk_fma_f32 v[8:9], v[8:9], 0.5, v[52:53] op_sel_hi:[1,0,1] neg_lo:[1,0,0] neg_hi:[1,0,0]
	v_pk_mul_f32 v[14:15], v[14:15], s[8:9] op_sel_hi:[1,0]
	v_fmac_f32_e32 v96, 0x3f5db3d7, v57
	v_pk_add_f32 v[22:23], v[8:9], v[14:15] op_sel:[0,1] op_sel_hi:[1,0] neg_lo:[0,1] neg_hi:[0,1]
	v_pk_add_f32 v[14:15], v[14:15], v[8:9] op_sel:[1,0] op_sel_hi:[0,1]
	v_pk_add_f32 v[8:9], v[24:25], v[30:31]
	v_pk_add_f32 v[24:25], v[16:17], v[24:25]
	v_fmac_f32_e32 v11, -0.5, v9
	v_fmamk_f32 v2, v28, 0x3f5db3d7, v11
	v_fmac_f32_e32 v11, 0xbf5db3d7, v28
	v_mul_f32_e32 v5, 0xbf5db3d7, v2
	v_mul_f32_e32 v7, 0.5, v2
	v_mov_b32_e32 v2, v11
	v_pk_mul_f32 v[10:11], v[2:3], s[8:9] op_sel_hi:[0,1]
	v_fmac_f32_e32 v3, 0xbf5db3d7, v56
	v_fmac_f32_e32 v16, -0.5, v8
	v_mov_b32_e32 v2, v3
	v_fmamk_f32 v1, v29, 0xbf5db3d7, v16
	v_pk_mul_f32 v[2:3], v[2:3], s[8:9] op_sel_hi:[0,1]
	v_fmac_f32_e32 v5, 0.5, v1
	v_fmac_f32_e32 v7, 0x3f5db3d7, v1
	v_pk_fma_f32 v[2:3], v[96:97], s[0:1], v[2:3] op_sel_hi:[0,1,1] neg_lo:[0,0,1] neg_hi:[0,0,1]
	v_mov_b32_e32 v1, v63
	v_pk_add_f32 v[34:35], v[60:61], v[58:59] neg_lo:[0,1] neg_hi:[0,1]
	v_pk_add_f32 v[38:39], v[0:1], v[2:3]
	v_pk_add_f32 v[24:25], v[24:25], v[30:31]
	v_fmac_f32_e32 v16, 0x3f5db3d7, v29
	v_pk_add_f32 v[12:13], v[18:19], v[12:13]
	ds_write2_b64 v51, v[38:39], v[34:35] offset0:176 offset1:236
	v_pk_add_f32 v[34:35], v[66:67], v[64:65] neg_lo:[0,1] neg_hi:[0,1]
	v_pk_add_f32 v[0:1], v[0:1], v[2:3] neg_lo:[0,1] neg_hi:[0,1]
	v_add_u32_e32 v2, 0x2800, v62
	v_accvgpr_read_b32 v3, a85
	v_pk_fma_f32 v[10:11], v[16:17], s[0:1], v[10:11] op_sel_hi:[0,1,1] neg_lo:[0,0,1] neg_hi:[0,0,1]
	v_add_f32_e32 v16, v22, v5
	v_sub_f32_e32 v18, v22, v5
	v_mov_b32_e32 v22, v14
	v_add_f32_e32 v17, v15, v7
	ds_write2_b64 v2, v[34:35], v[0:1] offset0:40 offset1:100
	v_pk_add_f32 v[0:1], v[12:13], v[24:25]
	v_add_u32_e32 v2, 0x2800, v3
	v_pk_add_f32 v[30:31], v[12:13], v[24:25] neg_lo:[0,1] neg_hi:[0,1]
	ds_write2_b64 v2, v[0:1], v[16:17] offset0:160 offset1:220
	v_pk_add_f32 v[0:1], v[22:23], v[10:11]
	v_add_u32_e32 v2, 0x3000, v3
	v_accvgpr_read_b32 v3, a84
	v_sub_f32_e32 v19, v15, v7
	v_pk_add_f32 v[32:33], v[22:23], v[10:11] neg_lo:[0,1] neg_hi:[0,1]
	ds_write2_b64 v2, v[0:1], v[30:31] offset0:24 offset1:84
	ds_write2_b64 v2, v[18:19], v[32:33] offset0:144 offset1:204
	v_pk_add_f32 v[0:1], v[20:21], v[36:37]
	v_add_u32_e32 v2, 0x3800, v3
	v_pk_add_f32 v[14:15], v[20:21], v[36:37] neg_lo:[0,1] neg_hi:[0,1]
	ds_write2_b64 v2, v[0:1], v[46:47] offset0:8 offset1:68
	v_pk_add_f32 v[0:1], v[44:45], v[26:27]
	v_pk_add_f32 v[28:29], v[44:45], v[26:27] neg_lo:[0,1] neg_hi:[0,1]
	ds_write2_b64 v2, v[0:1], v[14:15] offset0:128 offset1:188
	v_add_u32_e32 v0, 0x3c00, v3
	ds_write2_b64 v0, v[48:49], v[28:29] offset0:120 offset1:180
	s_waitcnt lgkmcnt(0)
	; wave barrier
	s_waitcnt lgkmcnt(0)
	ds_read2_b64 v[0:3], v216 offset1:60
	ds_read2_b64 v[22:25], v76 offset0:104 offset1:164
	ds_read2_b64 v[26:29], v50 offset0:80 offset1:140
	ds_read2_b64 v[30:33], v70 offset0:56 offset1:116
	ds_read2_b64 v[34:37], v152 offset0:160 offset1:220
	ds_read2_b64 v[38:41], v154 offset0:8 offset1:68
	s_waitcnt lgkmcnt(4)
	v_pk_mul_f32 v[10:11], v[140:141], v[22:23]
	s_waitcnt lgkmcnt(3)
	v_pk_mul_f32 v[14:15], v[142:143], v[26:27]
	v_pk_fma_f32 v[18:19], v[214:215], v[22:23], v[10:11] op_sel:[0,0,1] op_sel_hi:[1,1,0]
	v_pk_fma_f32 v[12:13], v[212:213], v[26:27], v[14:15] op_sel:[0,0,1] op_sel_hi:[1,1,0]
	v_pk_fma_f32 v[14:15], v[212:213], v[26:27], v[14:15] op_sel:[0,0,1] op_sel_hi:[1,1,0] neg_lo:[0,0,1] neg_hi:[0,0,1]
	v_pk_fma_f32 v[10:11], v[214:215], v[22:23], v[10:11] op_sel:[0,0,1] op_sel_hi:[1,1,0] neg_lo:[0,0,1] neg_hi:[0,0,1]
	v_mov_b32_e32 v13, v15
	s_waitcnt lgkmcnt(2)
	v_pk_mul_f32 v[14:15], v[136:137], v[30:31]
	s_waitcnt lgkmcnt(1)
	v_pk_mul_f32 v[16:17], v[138:139], v[34:35]
	v_pk_fma_f32 v[22:23], v[210:211], v[30:31], v[14:15] op_sel:[0,0,1] op_sel_hi:[1,1,0]
	v_pk_fma_f32 v[14:15], v[210:211], v[30:31], v[14:15] op_sel:[0,0,1] op_sel_hi:[1,1,0] neg_lo:[0,0,1] neg_hi:[0,0,1]
	v_mov_b32_e32 v19, v11
	v_mov_b32_e32 v23, v15
	v_pk_fma_f32 v[14:15], v[208:209], v[34:35], v[16:17] op_sel:[0,0,1] op_sel_hi:[1,1,0]
	v_pk_fma_f32 v[16:17], v[208:209], v[34:35], v[16:17] op_sel:[0,0,1] op_sel_hi:[1,1,0] neg_lo:[0,0,1] neg_hi:[0,0,1]
	v_mov_b32_e32 v10, v18
	v_mov_b32_e32 v15, v17
	v_accvgpr_read_b32 v16, a204
	v_accvgpr_read_b32 v17, a205
	s_waitcnt lgkmcnt(0)
	v_pk_mul_f32 v[16:17], v[16:17], v[38:39]
	v_pk_add_f32 v[18:19], v[18:19], v[22:23]
	v_pk_fma_f32 v[26:27], v[206:207], v[38:39], v[16:17] op_sel:[0,0,1] op_sel_hi:[1,1,0]
	v_pk_fma_f32 v[16:17], v[206:207], v[38:39], v[16:17] op_sel:[0,0,1] op_sel_hi:[1,1,0] neg_lo:[0,0,1] neg_hi:[0,0,1]
	v_mov_b32_e32 v5, v6
	v_mov_b32_e32 v27, v17
	v_pk_add_f32 v[16:17], v[0:1], v[12:13]
	v_pk_add_f32 v[30:31], v[22:23], v[26:27] neg_lo:[0,1] neg_hi:[0,1]
	v_pk_add_f32 v[20:21], v[16:17], v[14:15]
	v_pk_add_f32 v[16:17], v[22:23], v[26:27]
	;; [unrolled: 1-line block ×3, first 2 shown]
	v_fmac_f32_e32 v10, -0.5, v16
	v_fmac_f32_e32 v11, -0.5, v17
	v_pk_mul_f32 v[26:27], v[132:133], v[24:25]
	v_fmamk_f32 v16, v31, 0xbf5db3d7, v10
	v_fmac_f32_e32 v10, 0x3f5db3d7, v31
	v_fmamk_f32 v18, v30, 0x3f5db3d7, v11
	v_fmac_f32_e32 v11, 0xbf5db3d7, v30
	v_pk_fma_f32 v[30:31], v[204:205], v[24:25], v[26:27] op_sel:[0,0,1] op_sel_hi:[1,1,0]
	v_pk_fma_f32 v[60:61], v[204:205], v[24:25], v[26:27] op_sel:[0,0,1] op_sel_hi:[1,1,0] neg_lo:[0,0,1] neg_hi:[0,0,1]
	v_pk_mul_f32 v[24:25], v[134:135], v[28:29]
	v_mov_b32_e32 v31, v61
	v_pk_fma_f32 v[62:63], v[202:203], v[28:29], v[24:25] op_sel:[0,0,1] op_sel_hi:[1,1,0]
	v_pk_fma_f32 v[24:25], v[202:203], v[28:29], v[24:25] op_sel:[0,0,1] op_sel_hi:[1,1,0] neg_lo:[0,0,1] neg_hi:[0,0,1]
	v_mov_b32_e32 v60, v30
	v_mov_b32_e32 v63, v25
	v_pk_mul_f32 v[24:25], v[128:129], v[32:33]
	v_pk_add_f32 v[48:49], v[20:21], v[22:23]
	v_pk_fma_f32 v[26:27], v[200:201], v[32:33], v[24:25] op_sel:[0,0,1] op_sel_hi:[1,1,0]
	v_pk_fma_f32 v[24:25], v[200:201], v[32:33], v[24:25] op_sel:[0,0,1] op_sel_hi:[1,1,0] neg_lo:[0,0,1] neg_hi:[0,0,1]
	v_pk_add_f32 v[20:21], v[20:21], v[22:23] neg_lo:[0,1] neg_hi:[0,1]
	v_mov_b32_e32 v27, v25
	v_pk_mul_f32 v[24:25], v[130:131], v[36:37]
	v_pk_mul_f32 v[18:19], v[18:19], s[8:9] op_sel_hi:[0,1]
	v_pk_fma_f32 v[64:65], v[198:199], v[36:37], v[24:25] op_sel:[0,0,1] op_sel_hi:[1,1,0]
	v_pk_fma_f32 v[24:25], v[198:199], v[36:37], v[24:25] op_sel:[0,0,1] op_sel_hi:[1,1,0] neg_lo:[0,0,1] neg_hi:[0,0,1]
	v_mov_b32_e32 v8, s10
	v_mov_b32_e32 v65, v25
	v_accvgpr_read_b32 v24, a202
	v_accvgpr_read_b32 v25, a203
	v_pk_mul_f32 v[24:25], v[24:25], v[40:41]
	v_mov_b32_e32 v9, s11
	v_pk_fma_f32 v[28:29], v[196:197], v[40:41], v[24:25] op_sel:[0,0,1] op_sel_hi:[1,1,0]
	v_pk_fma_f32 v[24:25], v[196:197], v[40:41], v[24:25] op_sel:[0,0,1] op_sel_hi:[1,1,0] neg_lo:[0,0,1] neg_hi:[0,0,1]
	s_mul_i32 s15, s5, 0xd80
	v_mov_b32_e32 v29, v25
	v_pk_add_f32 v[32:33], v[26:27], v[28:29]
	v_pk_add_f32 v[34:35], v[26:27], v[28:29] neg_lo:[0,1] neg_hi:[0,1]
	v_fmac_f32_e32 v60, -0.5, v32
	v_pk_add_f32 v[26:27], v[30:31], v[26:27]
	v_fmac_f32_e32 v61, -0.5, v33
	v_fmamk_f32 v66, v35, 0xbf5db3d7, v60
	v_fmac_f32_e32 v60, 0x3f5db3d7, v35
	v_pk_add_f32 v[26:27], v[26:27], v[28:29]
	v_fmamk_f32 v68, v34, 0x3f5db3d7, v61
	v_fmac_f32_e32 v61, 0xbf5db3d7, v34
	ds_read2_b64 v[28:31], v216 offset0:120 offset1:180
	ds_read2_b64 v[32:35], v217 offset0:96 offset1:156
	ds_read2_b64 v[36:39], v78 offset0:72 offset1:132
	ds_read2_b64 v[40:43], v70 offset0:176 offset1:236
	ds_read2_b64 v[44:47], v150 offset0:24 offset1:84
	ds_read2_b64 v[52:55], v154 offset0:128 offset1:188
	s_waitcnt lgkmcnt(4)
	v_pk_mul_f32 v[56:57], v[124:125], v[32:33]
	v_pk_add_f32 v[24:25], v[2:3], v[62:63]
	v_pk_fma_f32 v[58:59], v[194:195], v[32:33], v[56:57] op_sel:[0,0,1] op_sel_hi:[1,1,0]
	v_pk_fma_f32 v[74:75], v[194:195], v[32:33], v[56:57] op_sel:[0,0,1] op_sel_hi:[1,1,0] neg_lo:[0,0,1] neg_hi:[0,0,1]
	s_waitcnt lgkmcnt(3)
	v_pk_mul_f32 v[32:33], v[126:127], v[36:37]
	v_mov_b32_e32 v59, v75
	v_pk_fma_f32 v[80:81], v[188:189], v[36:37], v[32:33] op_sel:[0,0,1] op_sel_hi:[1,1,0]
	v_pk_fma_f32 v[32:33], v[188:189], v[36:37], v[32:33] op_sel:[0,0,1] op_sel_hi:[1,1,0] neg_lo:[0,0,1] neg_hi:[0,0,1]
	v_mov_b32_e32 v74, v58
	v_mov_b32_e32 v81, v33
	s_waitcnt lgkmcnt(2)
	v_pk_mul_f32 v[32:33], v[120:121], v[40:41]
	v_pk_add_f32 v[24:25], v[24:25], v[64:65]
	v_pk_fma_f32 v[36:37], v[192:193], v[40:41], v[32:33] op_sel:[0,0,1] op_sel_hi:[1,1,0]
	v_pk_fma_f32 v[32:33], v[192:193], v[40:41], v[32:33] op_sel:[0,0,1] op_sel_hi:[1,1,0] neg_lo:[0,0,1] neg_hi:[0,0,1]
	v_pk_mul_f32 v[68:69], v[68:69], s[8:9] op_sel_hi:[0,1]
	v_mov_b32_e32 v37, v33
	s_waitcnt lgkmcnt(1)
	v_pk_mul_f32 v[32:33], v[122:123], v[44:45]
	v_accvgpr_read_b32 v120, a186
	v_pk_fma_f32 v[82:83], v[186:187], v[44:45], v[32:33] op_sel:[0,0,1] op_sel_hi:[1,1,0]
	v_pk_fma_f32 v[32:33], v[186:187], v[44:45], v[32:33] op_sel:[0,0,1] op_sel_hi:[1,1,0] neg_lo:[0,0,1] neg_hi:[0,0,1]
	v_accvgpr_read_b32 v121, a187
	v_mov_b32_e32 v83, v33
	v_accvgpr_read_b32 v32, a200
	v_accvgpr_read_b32 v33, a201
	s_waitcnt lgkmcnt(0)
	v_pk_mul_f32 v[32:33], v[32:33], v[52:53]
	v_accvgpr_read_b32 v122, a188
	v_pk_fma_f32 v[40:41], v[190:191], v[52:53], v[32:33] op_sel:[0,0,1] op_sel_hi:[1,1,0]
	v_pk_fma_f32 v[32:33], v[190:191], v[52:53], v[32:33] op_sel:[0,0,1] op_sel_hi:[1,1,0] neg_lo:[0,0,1] neg_hi:[0,0,1]
	v_accvgpr_read_b32 v123, a189
	v_mov_b32_e32 v41, v33
	v_pk_add_f32 v[32:33], v[28:29], v[80:81]
	v_pk_add_f32 v[44:45], v[36:37], v[40:41] neg_lo:[0,1] neg_hi:[0,1]
	v_pk_add_f32 v[86:87], v[32:33], v[82:83]
	v_pk_add_f32 v[32:33], v[36:37], v[40:41]
	;; [unrolled: 1-line block ×3, first 2 shown]
	v_fmac_f32_e32 v74, -0.5, v32
	v_fmac_f32_e32 v75, -0.5, v33
	v_pk_mul_f32 v[32:33], v[116:117], v[34:35]
	v_pk_add_f32 v[92:93], v[36:37], v[40:41]
	v_pk_fma_f32 v[36:37], v[184:185], v[34:35], v[32:33] op_sel:[0,0,1] op_sel_hi:[1,1,0]
	v_pk_fma_f32 v[98:99], v[184:185], v[34:35], v[32:33] op_sel:[0,0,1] op_sel_hi:[1,1,0] neg_lo:[0,0,1] neg_hi:[0,0,1]
	v_pk_mul_f32 v[32:33], v[118:119], v[38:39]
	v_mov_b32_e32 v37, v99
	v_pk_fma_f32 v[100:101], v[182:183], v[38:39], v[32:33] op_sel:[0,0,1] op_sel_hi:[1,1,0]
	v_pk_fma_f32 v[32:33], v[182:183], v[38:39], v[32:33] op_sel:[0,0,1] op_sel_hi:[1,1,0] neg_lo:[0,0,1] neg_hi:[0,0,1]
	v_accvgpr_read_b32 v38, a196
	v_accvgpr_read_b32 v39, a197
	v_mov_b32_e32 v101, v33
	v_pk_mul_f32 v[32:33], v[38:39], v[42:43]
	v_accvgpr_read_b32 v40, a198
	v_accvgpr_read_b32 v41, a199
	v_pk_fma_f32 v[34:35], v[180:181], v[42:43], v[32:33] op_sel:[0,0,1] op_sel_hi:[1,1,0]
	v_pk_fma_f32 v[32:33], v[180:181], v[42:43], v[32:33] op_sel:[0,0,1] op_sel_hi:[1,1,0] neg_lo:[0,0,1] neg_hi:[0,0,1]
	v_mov_b32_e32 v98, v36
	v_mov_b32_e32 v35, v33
	v_pk_mul_f32 v[32:33], v[40:41], v[46:47]
	v_accvgpr_read_b32 v116, a190
	v_pk_fma_f32 v[102:103], v[178:179], v[46:47], v[32:33] op_sel:[0,0,1] op_sel_hi:[1,1,0]
	v_pk_fma_f32 v[32:33], v[178:179], v[46:47], v[32:33] op_sel:[0,0,1] op_sel_hi:[1,1,0] neg_lo:[0,0,1] neg_hi:[0,0,1]
	v_fmamk_f32 v90, v45, 0xbf5db3d7, v74
	v_mov_b32_e32 v103, v33
	v_accvgpr_read_b32 v32, a194
	v_accvgpr_read_b32 v33, a195
	v_pk_mul_f32 v[32:33], v[32:33], v[54:55]
	v_fmac_f32_e32 v74, 0x3f5db3d7, v45
	v_pk_fma_f32 v[38:39], v[176:177], v[54:55], v[32:33] op_sel:[0,0,1] op_sel_hi:[1,1,0]
	v_pk_fma_f32 v[32:33], v[176:177], v[54:55], v[32:33] op_sel:[0,0,1] op_sel_hi:[1,1,0] neg_lo:[0,0,1] neg_hi:[0,0,1]
	v_fmamk_f32 v94, v44, 0x3f5db3d7, v75
	v_mov_b32_e32 v39, v33
	v_pk_add_f32 v[32:33], v[30:31], v[100:101]
	v_pk_add_f32 v[40:41], v[34:35], v[38:39] neg_lo:[0,1] neg_hi:[0,1]
	v_pk_add_f32 v[104:105], v[32:33], v[102:103]
	v_pk_add_f32 v[32:33], v[34:35], v[38:39]
	v_pk_add_f32 v[34:35], v[36:37], v[34:35]
	v_fmac_f32_e32 v98, -0.5, v32
	v_fmac_f32_e32 v99, -0.5, v33
	v_fmac_f32_e32 v75, 0xbf5db3d7, v44
	v_fmamk_f32 v106, v41, 0xbf5db3d7, v98
	v_fmac_f32_e32 v98, 0x3f5db3d7, v41
	v_pk_add_f32 v[108:109], v[34:35], v[38:39]
	v_fmamk_f32 v110, v40, 0x3f5db3d7, v99
	v_fmac_f32_e32 v99, 0xbf5db3d7, v40
	ds_read2_b64 v[32:35], v88 offset0:112 offset1:172
	ds_read2_b64 v[36:39], v79 offset0:88 offset1:148
	;; [unrolled: 1-line block ×6, first 2 shown]
	v_accvgpr_read_b32 v117, a191
	v_accvgpr_read_b32 v118, a192
	;; [unrolled: 1-line block ×3, first 2 shown]
	s_waitcnt lgkmcnt(4)
	v_pk_mul_f32 v[114:115], v[116:117], v[36:37]
	v_pk_add_f32 v[72:73], v[24:25], v[26:27]
	v_pk_fma_f32 v[116:117], v[174:175], v[36:37], v[114:115] op_sel:[0,0,1] op_sel_hi:[1,1,0]
	v_pk_fma_f32 v[36:37], v[174:175], v[36:37], v[114:115] op_sel:[0,0,1] op_sel_hi:[1,1,0] neg_lo:[0,0,1] neg_hi:[0,0,1]
	s_waitcnt lgkmcnt(3)
	v_pk_mul_f32 v[114:115], v[118:119], v[40:41]
	v_mov_b32_e32 v117, v37
	v_pk_fma_f32 v[118:119], v[172:173], v[40:41], v[114:115] op_sel:[0,0,1] op_sel_hi:[1,1,0]
	v_pk_fma_f32 v[40:41], v[172:173], v[40:41], v[114:115] op_sel:[0,0,1] op_sel_hi:[1,1,0] neg_lo:[0,0,1] neg_hi:[0,0,1]
	v_mov_b32_e32 v36, v116
	v_mov_b32_e32 v119, v41
	s_waitcnt lgkmcnt(2)
	v_pk_mul_f32 v[40:41], v[120:121], v[44:45]
	v_pk_add_f32 v[96:97], v[86:87], v[92:93]
	v_pk_fma_f32 v[114:115], v[170:171], v[44:45], v[40:41] op_sel:[0,0,1] op_sel_hi:[1,1,0]
	v_pk_fma_f32 v[40:41], v[170:171], v[44:45], v[40:41] op_sel:[0,0,1] op_sel_hi:[1,1,0] neg_lo:[0,0,1] neg_hi:[0,0,1]
	v_pk_add_f32 v[112:113], v[104:105], v[108:109]
	v_mov_b32_e32 v115, v41
	s_waitcnt lgkmcnt(1)
	v_pk_mul_f32 v[40:41], v[122:123], v[52:53]
	v_pk_add_f32 v[22:23], v[24:25], v[26:27] neg_lo:[0,1] neg_hi:[0,1]
	v_pk_fma_f32 v[44:45], v[168:169], v[52:53], v[40:41] op_sel:[0,0,1] op_sel_hi:[1,1,0]
	v_pk_fma_f32 v[40:41], v[168:169], v[52:53], v[40:41] op_sel:[0,0,1] op_sel_hi:[1,1,0] neg_lo:[0,0,1] neg_hi:[0,0,1]
	s_movk_i32 s14, 0x1000
	v_mov_b32_e32 v45, v41
	v_accvgpr_read_b32 v40, a184
	v_accvgpr_read_b32 v41, a185
	s_waitcnt lgkmcnt(0)
	v_pk_mul_f32 v[40:41], v[40:41], v[56:57]
	s_nop 0
	v_pk_fma_f32 v[52:53], v[166:167], v[56:57], v[40:41] op_sel:[0,0,1] op_sel_hi:[1,1,0]
	v_pk_fma_f32 v[40:41], v[166:167], v[56:57], v[40:41] op_sel:[0,0,1] op_sel_hi:[1,1,0] neg_lo:[0,0,1] neg_hi:[0,0,1]
	s_nop 0
	v_mov_b32_e32 v53, v41
	v_pk_add_f32 v[56:57], v[114:115], v[52:53]
	v_pk_add_f32 v[120:121], v[114:115], v[52:53] neg_lo:[0,1] neg_hi:[0,1]
	v_fmac_f32_e32 v36, -0.5, v56
	v_pk_add_f32 v[114:115], v[116:117], v[114:115]
	v_fmac_f32_e32 v37, -0.5, v57
	v_fmamk_f32 v56, v121, 0xbf5db3d7, v36
	v_fmac_f32_e32 v36, 0x3f5db3d7, v121
	v_pk_add_f32 v[52:53], v[114:115], v[52:53]
	v_fmamk_f32 v114, v120, 0x3f5db3d7, v37
	v_fmac_f32_e32 v37, 0xbf5db3d7, v120
	v_pk_add_f32 v[120:121], v[62:63], v[64:65]
	v_pk_add_f32 v[62:63], v[62:63], v[64:65] neg_lo:[0,1] neg_hi:[0,1]
	v_pk_fma_f32 v[2:3], v[120:121], 0.5, v[2:3] op_sel_hi:[1,0,1] neg_lo:[1,0,0] neg_hi:[1,0,0]
	v_pk_mul_f32 v[62:63], v[62:63], s[8:9] op_sel_hi:[1,0]
	v_pk_fma_f32 v[120:121], v[66:67], s[12:13], v[68:69] neg_lo:[0,0,1] neg_hi:[0,0,1]
	v_pk_add_f32 v[64:65], v[2:3], v[62:63] op_sel:[0,1] op_sel_hi:[1,0] neg_lo:[0,1] neg_hi:[0,1]
	v_pk_add_f32 v[2:3], v[2:3], v[62:63] op_sel:[0,1] op_sel_hi:[1,0]
	v_mov_b32_e32 v62, v64
	v_mov_b32_e32 v64, v61
	v_pk_fma_f32 v[66:67], v[66:67], s[12:13], v[68:69] op_sel_hi:[0,1,1]
	v_pk_mul_f32 v[68:69], v[64:65], s[8:9] op_sel_hi:[0,1]
	v_mov_b32_e32 v63, v3
	v_pk_fma_f32 v[60:61], v[60:61], s[0:1], v[68:69] op_sel_hi:[0,1,1] neg_lo:[0,0,1] neg_hi:[0,0,1]
	v_mov_b32_e32 v3, v65
	v_mov_b32_e32 v121, v67
	v_pk_add_f32 v[64:65], v[2:3], v[60:61]
	v_pk_add_f32 v[2:3], v[2:3], v[60:61] neg_lo:[0,1] neg_hi:[0,1]
	ds_write_b64 v216, v[2:3] offset:14880
	v_pk_add_f32 v[2:3], v[62:63], v[120:121] neg_lo:[0,1] neg_hi:[0,1]
	v_pk_add_f32 v[66:67], v[62:63], v[120:121]
	ds_write_b64 v216, v[64:65] offset:6240
	ds_write_b64 v216, v[2:3] offset:12000
	;; [unrolled: 1-line block ×3, first 2 shown]
	ds_write2_b64 v216, v[48:49], v[72:73] offset1:60
	v_pk_add_f32 v[2:3], v[80:81], v[82:83]
	v_pk_mul_f32 v[60:61], v[94:95], s[8:9] op_sel_hi:[0,1]
	v_pk_fma_f32 v[2:3], v[2:3], 0.5, v[28:29] op_sel_hi:[1,0,1] neg_lo:[1,0,0] neg_hi:[1,0,0]
	v_pk_add_f32 v[28:29], v[80:81], v[82:83] neg_lo:[0,1] neg_hi:[0,1]
	v_pk_fma_f32 v[62:63], v[90:91], s[12:13], v[60:61] neg_lo:[0,0,1] neg_hi:[0,0,1]
	v_pk_mul_f32 v[28:29], v[28:29], s[8:9] op_sel_hi:[1,0]
	v_pk_fma_f32 v[60:61], v[90:91], s[12:13], v[60:61] op_sel_hi:[0,1,1]
	v_pk_add_f32 v[48:49], v[2:3], v[28:29] op_sel:[0,1] op_sel_hi:[1,0] neg_lo:[0,1] neg_hi:[0,1]
	v_pk_add_f32 v[2:3], v[2:3], v[28:29] op_sel:[0,1] op_sel_hi:[1,0]
	v_mov_b32_e32 v28, v48
	v_mov_b32_e32 v48, v75
	v_pk_mul_f32 v[64:65], v[48:49], s[8:9] op_sel_hi:[0,1]
	v_mov_b32_e32 v29, v3
	v_mov_b32_e32 v63, v61
	v_pk_fma_f32 v[64:65], v[74:75], s[0:1], v[64:65] op_sel_hi:[0,1,1] neg_lo:[0,0,1] neg_hi:[0,0,1]
	v_mov_b32_e32 v3, v49
	v_pk_add_f32 v[60:61], v[28:29], v[62:63]
	v_pk_add_f32 v[48:49], v[2:3], v[64:65]
	v_pk_add_f32 v[28:29], v[28:29], v[62:63] neg_lo:[0,1] neg_hi:[0,1]
	v_pk_add_f32 v[2:3], v[2:3], v[64:65] neg_lo:[0,1] neg_hi:[0,1]
	ds_write_b64 v216, v[48:49] offset:6720
	ds_write_b64 v216, v[28:29] offset:12480
	;; [unrolled: 1-line block ×4, first 2 shown]
	ds_write2_b64 v216, v[96:97], v[112:113] offset0:120 offset1:180
	v_pk_add_f32 v[2:3], v[100:101], v[102:103]
	v_pk_add_f32 v[28:29], v[100:101], v[102:103] neg_lo:[0,1] neg_hi:[0,1]
	v_pk_fma_f32 v[2:3], v[2:3], 0.5, v[30:31] op_sel_hi:[1,0,1] neg_lo:[1,0,0] neg_hi:[1,0,0]
	v_pk_mul_f32 v[28:29], v[28:29], s[8:9] op_sel_hi:[1,0]
	v_pk_mul_f32 v[48:49], v[110:111], s[8:9] op_sel_hi:[0,1]
	v_pk_add_f32 v[30:31], v[2:3], v[28:29] op_sel:[0,1] op_sel_hi:[1,0] neg_lo:[0,1] neg_hi:[0,1]
	v_pk_add_f32 v[2:3], v[2:3], v[28:29] op_sel:[0,1] op_sel_hi:[1,0]
	v_mov_b32_e32 v28, v30
	v_mov_b32_e32 v30, v99
	v_pk_fma_f32 v[60:61], v[106:107], s[12:13], v[48:49] neg_lo:[0,0,1] neg_hi:[0,0,1]
	v_pk_fma_f32 v[48:49], v[106:107], s[12:13], v[48:49] op_sel_hi:[0,1,1]
	v_pk_mul_f32 v[62:63], v[30:31], s[8:9] op_sel_hi:[0,1]
	v_mov_b32_e32 v29, v3
	v_mov_b32_e32 v61, v49
	v_pk_fma_f32 v[62:63], v[98:99], s[0:1], v[62:63] op_sel_hi:[0,1,1] neg_lo:[0,0,1] neg_hi:[0,0,1]
	v_mov_b32_e32 v3, v31
	v_pk_add_f32 v[48:49], v[28:29], v[60:61]
	v_pk_add_f32 v[30:31], v[2:3], v[62:63]
	v_pk_add_f32 v[28:29], v[28:29], v[60:61] neg_lo:[0,1] neg_hi:[0,1]
	v_pk_add_f32 v[2:3], v[2:3], v[62:63] neg_lo:[0,1] neg_hi:[0,1]
	v_accvgpr_read_b32 v60, a176
	v_accvgpr_read_b32 v61, a177
	ds_write_b64 v216, v[2:3] offset:15840
	v_pk_mul_f32 v[2:3], v[60:61], v[38:39]
	v_accvgpr_read_b32 v60, a234
	v_accvgpr_read_b32 v62, a178
	;; [unrolled: 1-line block ×4, first 2 shown]
	ds_write_b64 v216, v[28:29] offset:12960
	v_pk_fma_f32 v[28:29], v[60:61], v[38:39], v[2:3] op_sel:[0,0,1] op_sel_hi:[1,1,0]
	v_pk_fma_f32 v[2:3], v[60:61], v[38:39], v[2:3] op_sel:[0,0,1] op_sel_hi:[1,1,0] neg_lo:[0,0,1] neg_hi:[0,0,1]
	v_pk_mul_f32 v[38:39], v[62:63], v[42:43]
	v_accvgpr_read_b32 v62, a232
	ds_write2_b64 v70, v[20:21], v[22:23] offset0:56 offset1:116
	v_pk_add_f32 v[22:23], v[12:13], v[14:15]
	v_pk_add_f32 v[12:13], v[12:13], v[14:15] neg_lo:[0,1] neg_hi:[0,1]
	v_accvgpr_read_b32 v63, a233
	v_pk_fma_f32 v[0:1], v[22:23], 0.5, v[0:1] op_sel_hi:[1,0,1] neg_lo:[1,0,0] neg_hi:[1,0,0]
	v_pk_mul_f32 v[12:13], v[12:13], s[8:9] op_sel_hi:[1,0]
	v_pk_fma_f32 v[60:61], v[62:63], v[42:43], v[38:39] op_sel:[0,0,1] op_sel_hi:[1,1,0]
	v_pk_fma_f32 v[38:39], v[62:63], v[42:43], v[38:39] op_sel:[0,0,1] op_sel_hi:[1,1,0] neg_lo:[0,0,1] neg_hi:[0,0,1]
	v_accvgpr_read_b32 v62, a180
	v_pk_add_f32 v[14:15], v[0:1], v[12:13] op_sel:[0,1] op_sel_hi:[1,0] neg_lo:[0,1] neg_hi:[0,1]
	v_accvgpr_read_b32 v63, a181
	v_pk_add_f32 v[0:1], v[0:1], v[12:13] op_sel:[0,1] op_sel_hi:[1,0]
	v_mov_b32_e32 v12, v14
	v_mov_b32_e32 v14, v11
	;; [unrolled: 1-line block ×3, first 2 shown]
	v_pk_mul_f32 v[38:39], v[62:63], v[46:47]
	v_accvgpr_read_b32 v62, a230
	v_pk_fma_f32 v[22:23], v[16:17], s[12:13], v[18:19] neg_lo:[0,0,1] neg_hi:[0,0,1]
	v_pk_fma_f32 v[16:17], v[16:17], s[12:13], v[18:19] op_sel_hi:[0,1,1]
	v_pk_mul_f32 v[18:19], v[14:15], s[8:9] op_sel_hi:[0,1]
	v_accvgpr_read_b32 v63, a231
	v_mov_b32_e32 v13, v1
	v_pk_fma_f32 v[10:11], v[10:11], s[0:1], v[18:19] op_sel_hi:[0,1,1] neg_lo:[0,0,1] neg_hi:[0,0,1]
	v_mov_b32_e32 v1, v15
	v_accvgpr_read_b32 v64, a182
	v_accvgpr_read_b32 v65, a183
	v_pk_fma_f32 v[42:43], v[62:63], v[46:47], v[38:39] op_sel:[0,0,1] op_sel_hi:[1,1,0]
	v_pk_fma_f32 v[38:39], v[62:63], v[46:47], v[38:39] op_sel:[0,0,1] op_sel_hi:[1,1,0] neg_lo:[0,0,1] neg_hi:[0,0,1]
	v_accvgpr_read_b32 v62, a228
	v_mov_b32_e32 v23, v17
	v_pk_add_f32 v[14:15], v[0:1], v[10:11]
	v_pk_add_f32 v[0:1], v[0:1], v[10:11] neg_lo:[0,1] neg_hi:[0,1]
	v_mov_b32_e32 v43, v39
	v_pk_mul_f32 v[38:39], v[64:65], v[54:55]
	v_accvgpr_read_b32 v63, a229
	ds_write_b64 v216, v[0:1] offset:14400
	v_pk_add_f32 v[0:1], v[12:13], v[22:23] neg_lo:[0,1] neg_hi:[0,1]
	v_pk_fma_f32 v[46:47], v[62:63], v[54:55], v[38:39] op_sel:[0,0,1] op_sel_hi:[1,1,0]
	v_pk_fma_f32 v[38:39], v[62:63], v[54:55], v[38:39] op_sel:[0,0,1] op_sel_hi:[1,1,0] neg_lo:[0,0,1] neg_hi:[0,0,1]
	v_pk_add_f32 v[20:21], v[86:87], v[92:93] neg_lo:[0,1] neg_hi:[0,1]
	v_pk_add_f32 v[16:17], v[12:13], v[22:23]
	ds_write_b64 v216, v[0:1] offset:11520
	ds_write_b64 v216, v[16:17] offset:2880
	v_pk_add_f32 v[0:1], v[104:105], v[108:109] neg_lo:[0,1] neg_hi:[0,1]
	v_mov_b32_e32 v47, v39
	v_accvgpr_read_b32 v38, a174
	ds_write2_b64 v70, v[20:21], v[0:1] offset0:176 offset1:236
	v_pk_add_f32 v[0:1], v[118:119], v[44:45]
	v_pk_add_f32 v[10:11], v[118:119], v[44:45] neg_lo:[0,1] neg_hi:[0,1]
	v_accvgpr_read_b32 v39, a175
	v_accvgpr_read_b32 v62, a226
	v_pk_fma_f32 v[0:1], v[0:1], 0.5, v[32:33] op_sel_hi:[1,0,1] neg_lo:[1,0,0] neg_hi:[1,0,0]
	v_pk_mul_f32 v[10:11], v[10:11], s[8:9] op_sel_hi:[1,0]
	v_pk_mul_f32 v[16:17], v[114:115], s[8:9] op_sel_hi:[0,1]
	v_pk_mul_f32 v[38:39], v[38:39], v[58:59]
	v_accvgpr_read_b32 v63, a227
	v_pk_add_f32 v[12:13], v[0:1], v[10:11] op_sel:[0,1] op_sel_hi:[1,0] neg_lo:[0,1] neg_hi:[0,1]
	v_pk_add_f32 v[0:1], v[0:1], v[10:11] op_sel:[0,1] op_sel_hi:[1,0]
	v_pk_fma_f32 v[18:19], v[56:57], s[12:13], v[16:17] neg_lo:[0,0,1] neg_hi:[0,0,1]
	v_pk_fma_f32 v[16:17], v[56:57], s[12:13], v[16:17] op_sel_hi:[0,1,1]
	v_pk_fma_f32 v[54:55], v[62:63], v[58:59], v[38:39] op_sel:[0,0,1] op_sel_hi:[1,1,0]
	v_pk_fma_f32 v[38:39], v[62:63], v[58:59], v[38:39] op_sel:[0,0,1] op_sel_hi:[1,1,0] neg_lo:[0,0,1] neg_hi:[0,0,1]
	v_mov_b32_e32 v10, v12
	v_mov_b32_e32 v11, v1
	v_mov_b32_e32 v19, v17
	v_mov_b32_e32 v55, v39
	v_pk_add_f32 v[16:17], v[10:11], v[18:19]
	v_mov_b32_e32 v12, v37
	v_pk_add_f32 v[58:59], v[42:43], v[54:55]
	ds_write2_b64 v79, v[48:49], v[16:17] offset0:28 offset1:88
	v_pk_mul_f32 v[16:17], v[12:13], s[8:9] op_sel_hi:[0,1]
	v_mov_b32_e32 v29, v3
	v_mov_b32_e32 v2, v28
	v_pk_add_f32 v[62:63], v[42:43], v[54:55] neg_lo:[0,1] neg_hi:[0,1]
	v_fmac_f32_e32 v3, -0.5, v59
	v_pk_fma_f32 v[16:17], v[36:37], s[0:1], v[16:17] op_sel_hi:[0,1,1] neg_lo:[0,0,1] neg_hi:[0,0,1]
	v_mov_b32_e32 v1, v13
	v_fmac_f32_e32 v2, -0.5, v58
	v_pk_add_f32 v[28:29], v[28:29], v[42:43]
	v_fmamk_f32 v42, v62, 0x3f5db3d7, v3
	v_pk_add_f32 v[12:13], v[0:1], v[16:17]
	v_pk_add_f32 v[10:11], v[10:11], v[18:19] neg_lo:[0,1] neg_hi:[0,1]
	v_pk_add_f32 v[0:1], v[0:1], v[16:17] neg_lo:[0,1] neg_hi:[0,1]
	v_pk_add_f32 v[16:17], v[60:61], v[46:47]
	v_pk_add_f32 v[18:19], v[60:61], v[46:47] neg_lo:[0,1] neg_hi:[0,1]
	v_fmamk_f32 v58, v63, 0xbf5db3d7, v2
	v_pk_fma_f32 v[16:17], v[16:17], 0.5, v[34:35] op_sel_hi:[1,0,1] neg_lo:[1,0,0] neg_hi:[1,0,0]
	v_pk_mul_f32 v[18:19], v[18:19], s[8:9] op_sel_hi:[1,0]
	v_pk_mul_f32 v[22:23], v[42:43], s[8:9] op_sel_hi:[0,1]
	v_pk_add_f32 v[20:21], v[16:17], v[18:19] op_sel:[0,1] op_sel_hi:[1,0] neg_lo:[0,1] neg_hi:[0,1]
	v_pk_add_f32 v[16:17], v[16:17], v[18:19] op_sel:[0,1] op_sel_hi:[1,0]
	v_pk_fma_f32 v[24:25], v[58:59], s[12:13], v[22:23] neg_lo:[0,0,1] neg_hi:[0,0,1]
	v_pk_fma_f32 v[22:23], v[58:59], s[12:13], v[22:23] op_sel_hi:[0,1,1]
	v_mov_b32_e32 v18, v20
	v_mov_b32_e32 v19, v17
	;; [unrolled: 1-line block ×3, first 2 shown]
	v_fmac_f32_e32 v3, 0xbf5db3d7, v62
	v_pk_add_f32 v[22:23], v[18:19], v[24:25]
	ds_write2_b64 v79, v[22:23], v[14:15] offset0:148 offset1:208
	v_mov_b32_e32 v14, v3
	v_fmac_f32_e32 v2, 0x3f5db3d7, v63
	v_pk_mul_f32 v[14:15], v[14:15], s[8:9] op_sel_hi:[0,1]
	v_pk_add_f32 v[40:41], v[32:33], v[118:119]
	v_pk_add_f32 v[38:39], v[34:35], v[60:61]
	v_pk_fma_f32 v[2:3], v[2:3], s[0:1], v[14:15] op_sel_hi:[0,1,1] neg_lo:[0,0,1] neg_hi:[0,0,1]
	v_mov_b32_e32 v17, v21
	v_pk_add_f32 v[40:41], v[40:41], v[44:45]
	v_pk_add_f32 v[38:39], v[38:39], v[46:47]
	;; [unrolled: 1-line block ×4, first 2 shown]
	ds_write2_b64 v78, v[30:31], v[12:13] offset0:132 offset1:192
	v_pk_add_f32 v[12:13], v[40:41], v[52:53] neg_lo:[0,1] neg_hi:[0,1]
	ds_write_b64 v216, v[14:15] offset:8160
	v_pk_add_f32 v[14:15], v[38:39], v[28:29] neg_lo:[0,1] neg_hi:[0,1]
	v_pk_add_f32 v[116:117], v[40:41], v[52:53]
	v_pk_add_f32 v[54:55], v[38:39], v[28:29]
	ds_write2_b64 v152, v[12:13], v[14:15] offset0:40 offset1:100
	v_pk_add_f32 v[12:13], v[18:19], v[24:25] neg_lo:[0,1] neg_hi:[0,1]
	v_pk_add_f32 v[2:3], v[16:17], v[2:3] neg_lo:[0,1] neg_hi:[0,1]
	ds_write2_b64 v88, v[116:117], v[54:55] offset0:112 offset1:172
	ds_write2_b64 v150, v[10:11], v[12:13] offset0:144 offset1:204
	;; [unrolled: 1-line block ×3, first 2 shown]
	s_waitcnt lgkmcnt(0)
	; wave barrier
	s_waitcnt lgkmcnt(0)
	ds_read2_b64 v[10:13], v216 offset1:60
	v_accvgpr_read_b32 v2, a42
	v_accvgpr_read_b32 v3, a43
	s_mov_b32 s0, 0xc901e574
	s_mov_b32 s1, 0x3f3e573a
	s_waitcnt lgkmcnt(0)
	v_mul_f32_e32 v0, v3, v11
	v_fmac_f32_e32 v0, v2, v10
	v_cvt_f64_f32_e32 v[0:1], v0
	v_mul_f64 v[0:1], v[0:1], s[0:1]
	v_cvt_f32_f64_e32 v6, v[0:1]
	v_mul_f32_e32 v0, v3, v10
	v_fma_f32 v0, v2, v11, -v0
	v_cvt_f64_f32_e32 v[0:1], v0
	v_accvgpr_read_b32 v2, a22
	v_mul_f64 v[0:1], v[0:1], s[0:1]
	v_mad_u64_u32 v[10:11], s[6:7], s4, v2, 0
	v_cvt_f32_f64_e32 v7, v[0:1]
	v_mov_b32_e32 v0, v11
	v_mad_u64_u32 v[14:15], s[6:7], s5, v2, v[0:1]
	ds_read2_b64 v[0:3], v216 offset0:120 offset1:216
	v_mov_b32_e32 v11, v14
	v_lshl_add_u64 v[14:15], v[4:5], 3, v[8:9]
	v_accvgpr_read_b32 v8, a38
	v_lshl_add_u64 v[4:5], v[10:11], 3, v[14:15]
	v_accvgpr_read_b32 v9, a39
	global_store_dwordx2 v[4:5], v[6:7], off
	s_waitcnt lgkmcnt(0)
	v_mul_f32_e32 v6, v9, v3
	s_mul_i32 s6, s5, 0xd8
	s_mul_hi_u32 s7, s4, 0xd8
	ds_read2_b64 v[16:19], v76 offset0:176 offset1:236
	v_fmac_f32_e32 v6, v8, v2
	v_mul_f32_e32 v2, v9, v2
	s_add_i32 s7, s7, s6
	s_mul_i32 s6, s4, 0xd8
	v_fma_f32 v2, v8, v3, -v2
	s_lshl_b64 s[6:7], s[6:7], 3
	v_cvt_f64_f32_e32 v[6:7], v6
	v_cvt_f64_f32_e32 v[2:3], v2
	v_lshl_add_u64 v[8:9], v[4:5], 0, s[6:7]
	v_accvgpr_read_b32 v4, a36
	v_mul_f64 v[6:7], v[6:7], s[0:1]
	v_mul_f64 v[2:3], v[2:3], s[0:1]
	v_accvgpr_read_b32 v5, a37
	v_cvt_f32_f64_e32 v6, v[6:7]
	v_cvt_f32_f64_e32 v7, v[2:3]
	s_waitcnt lgkmcnt(0)
	v_mul_f32_e32 v2, v5, v17
	v_fmac_f32_e32 v2, v4, v16
	v_cvt_f64_f32_e32 v[2:3], v2
	v_mul_f64 v[2:3], v[2:3], s[0:1]
	global_store_dwordx2 v[8:9], v[6:7], off
	v_cvt_f32_f64_e32 v6, v[2:3]
	v_mul_f32_e32 v2, v5, v16
	v_fma_f32 v2, v4, v17, -v2
	v_cvt_f64_f32_e32 v[10:11], v2
	ds_read2_b64 v[2:5], v79 offset0:40 offset1:136
	v_mul_f64 v[10:11], v[10:11], s[0:1]
	v_cvt_f32_f64_e32 v7, v[10:11]
	v_accvgpr_read_b32 v10, a32
	v_lshl_add_u64 v[8:9], v[8:9], 0, s[6:7]
	v_accvgpr_read_b32 v11, a33
	global_store_dwordx2 v[8:9], v[6:7], off
	s_waitcnt lgkmcnt(0)
	v_mul_f32_e32 v6, v11, v5
	v_fmac_f32_e32 v6, v10, v4
	v_mul_f32_e32 v4, v11, v4
	v_fma_f32 v4, v10, v5, -v4
	v_cvt_f64_f32_e32 v[6:7], v6
	v_cvt_f64_f32_e32 v[4:5], v4
	ds_read2_b64 v[20:23], v78 offset0:96 offset1:156
	v_mul_f64 v[6:7], v[6:7], s[0:1]
	v_mul_f64 v[4:5], v[4:5], s[0:1]
	v_cvt_f32_f64_e32 v6, v[6:7]
	v_cvt_f32_f64_e32 v7, v[4:5]
	v_lshl_add_u64 v[8:9], v[8:9], 0, s[6:7]
	global_store_dwordx2 v[8:9], v[6:7], off
	v_accvgpr_read_b32 v6, a30
	v_accvgpr_read_b32 v7, a31
	s_waitcnt lgkmcnt(0)
	v_mul_f32_e32 v4, v7, v21
	v_fmac_f32_e32 v4, v6, v20
	v_cvt_f64_f32_e32 v[4:5], v4
	v_mul_f64 v[4:5], v[4:5], s[0:1]
	v_cvt_f32_f64_e32 v10, v[4:5]
	v_mul_f32_e32 v4, v7, v20
	v_fma_f32 v4, v6, v21, -v4
	v_cvt_f64_f32_e32 v[16:17], v4
	v_add_u32_e32 v4, 0x1c00, v216
	ds_read2_b64 v[4:7], v4 offset0:88 offset1:184
	v_mul_f64 v[16:17], v[16:17], s[0:1]
	v_cvt_f32_f64_e32 v11, v[16:17]
	v_accvgpr_read_b32 v16, a24
	v_lshl_add_u64 v[8:9], v[8:9], 0, s[6:7]
	v_accvgpr_read_b32 v17, a25
	global_store_dwordx2 v[8:9], v[10:11], off
	s_waitcnt lgkmcnt(0)
	v_mul_f32_e32 v10, v17, v7
	ds_read2_b64 v[24:27], v152 offset0:16 offset1:76
	v_fmac_f32_e32 v10, v16, v6
	v_mul_f32_e32 v6, v17, v6
	v_fma_f32 v6, v16, v7, -v6
	v_cvt_f64_f32_e32 v[10:11], v10
	v_cvt_f64_f32_e32 v[6:7], v6
	v_lshl_add_u64 v[16:17], v[8:9], 0, s[6:7]
	v_accvgpr_read_b32 v8, a20
	v_mul_f64 v[10:11], v[10:11], s[0:1]
	v_mul_f64 v[6:7], v[6:7], s[0:1]
	v_accvgpr_read_b32 v9, a21
	v_cvt_f32_f64_e32 v10, v[10:11]
	v_cvt_f32_f64_e32 v11, v[6:7]
	s_waitcnt lgkmcnt(0)
	v_mul_f32_e32 v6, v9, v25
	v_fmac_f32_e32 v6, v8, v24
	v_cvt_f64_f32_e32 v[6:7], v6
	v_mul_f64 v[6:7], v[6:7], s[0:1]
	global_store_dwordx2 v[16:17], v[10:11], off
	v_cvt_f32_f64_e32 v10, v[6:7]
	v_mul_f32_e32 v6, v9, v24
	v_fma_f32 v6, v8, v25, -v6
	v_cvt_f64_f32_e32 v[20:21], v6
	ds_read2_b64 v[6:9], v152 offset0:136 offset1:232
	v_mul_f64 v[20:21], v[20:21], s[0:1]
	v_cvt_f32_f64_e32 v11, v[20:21]
	v_accvgpr_read_b32 v20, a34
	v_lshl_add_u64 v[16:17], v[16:17], 0, s[6:7]
	v_accvgpr_read_b32 v21, a35
	global_store_dwordx2 v[16:17], v[10:11], off
	s_waitcnt lgkmcnt(0)
	v_mul_f32_e32 v10, v21, v9
	v_fmac_f32_e32 v10, v20, v8
	v_mul_f32_e32 v8, v21, v8
	v_fma_f32 v8, v20, v9, -v8
	v_cvt_f64_f32_e32 v[10:11], v10
	v_cvt_f64_f32_e32 v[8:9], v8
	ds_read2_b64 v[28:31], v150 offset0:192 offset1:252
	v_mul_f64 v[10:11], v[10:11], s[0:1]
	v_mul_f64 v[8:9], v[8:9], s[0:1]
	v_cvt_f32_f64_e32 v10, v[10:11]
	v_cvt_f32_f64_e32 v11, v[8:9]
	v_lshl_add_u64 v[16:17], v[16:17], 0, s[6:7]
	global_store_dwordx2 v[16:17], v[10:11], off
	v_accvgpr_read_b32 v10, a26
	v_accvgpr_read_b32 v11, a27
	s_waitcnt lgkmcnt(0)
	v_mul_f32_e32 v8, v11, v29
	v_fmac_f32_e32 v8, v10, v28
	v_cvt_f64_f32_e32 v[8:9], v8
	v_mul_f64 v[8:9], v[8:9], s[0:1]
	v_cvt_f32_f64_e32 v20, v[8:9]
	v_mul_f32_e32 v8, v11, v28
	v_fma_f32 v8, v10, v29, -v8
	v_accvgpr_read_b32 v29, a18
	v_cvt_f64_f32_e32 v[8:9], v8
	v_mad_u64_u32 v[24:25], s[8:9], s4, v29, 0
	v_mul_f64 v[8:9], v[8:9], s[0:1]
	v_mov_b32_e32 v28, v25
	v_cvt_f32_f64_e32 v21, v[8:9]
	ds_read2_b64 v[8:11], v154 offset0:56 offset1:152
	v_mad_u64_u32 v[28:29], s[8:9], s5, v29, v[28:29]
	v_mov_b32_e32 v25, v28
	v_lshl_add_u64 v[24:25], v[24:25], 3, v[14:15]
	global_store_dwordx2 v[24:25], v[20:21], off
	v_accvgpr_read_b32 v24, a62
	v_accvgpr_read_b32 v25, a63
	s_waitcnt lgkmcnt(0)
	v_mul_f32_e32 v20, v25, v11
	v_fmac_f32_e32 v20, v24, v10
	v_mul_f32_e32 v10, v25, v10
	v_fma_f32 v10, v24, v11, -v10
	v_cvt_f64_f32_e32 v[20:21], v20
	v_cvt_f64_f32_e32 v[10:11], v10
	v_mul_f64 v[20:21], v[20:21], s[0:1]
	v_mul_f64 v[10:11], v[10:11], s[0:1]
	v_accvgpr_read_b32 v25, a17
	v_cvt_f32_f64_e32 v20, v[20:21]
	v_cvt_f32_f64_e32 v21, v[10:11]
	v_accvgpr_read_b32 v24, a16
	v_mul_f32_e32 v10, v25, v13
	v_mov_b32_e32 v32, 0xd80
	v_fmac_f32_e32 v10, v24, v12
	v_mad_u64_u32 v[16:17], s[8:9], s4, v32, v[16:17]
	v_cvt_f64_f32_e32 v[10:11], v10
	v_add_u32_e32 v17, s15, v17
	v_mul_f64 v[10:11], v[10:11], s[0:1]
	global_store_dwordx2 v[16:17], v[20:21], off
	v_cvt_f32_f64_e32 v20, v[10:11]
	v_mul_f32_e32 v10, v25, v12
	v_fma_f32 v10, v24, v13, -v10
	v_cvt_f64_f32_e32 v[10:11], v10
	v_mul_f64 v[10:11], v[10:11], s[0:1]
	v_cvt_f32_f64_e32 v21, v[10:11]
	s_mul_hi_u32 s9, s4, 0xfffff8a4
	ds_read2_b64 v[10:13], v76 offset0:20 offset1:80
	s_mul_i32 s8, s5, 0xfffff8a4
	s_sub_i32 s9, s9, s4
	s_add_i32 s9, s9, s8
	s_mul_i32 s8, s4, 0xfffff8a4
	s_lshl_b64 s[10:11], s[8:9], 3
	v_accvgpr_read_b32 v24, a52
	v_lshl_add_u64 v[16:17], v[16:17], 0, s[10:11]
	v_accvgpr_read_b32 v25, a53
	global_store_dwordx2 v[16:17], v[20:21], off
	s_waitcnt lgkmcnt(0)
	v_mul_f32_e32 v20, v25, v11
	v_fmac_f32_e32 v20, v24, v10
	v_mul_f32_e32 v10, v25, v10
	v_fma_f32 v10, v24, v11, -v10
	v_cvt_f64_f32_e32 v[20:21], v20
	v_cvt_f64_f32_e32 v[10:11], v10
	v_accvgpr_read_b32 v24, a50
	v_mul_f64 v[20:21], v[20:21], s[0:1]
	v_mul_f64 v[10:11], v[10:11], s[0:1]
	v_accvgpr_read_b32 v25, a51
	v_cvt_f32_f64_e32 v20, v[20:21]
	v_cvt_f32_f64_e32 v21, v[10:11]
	v_lshl_add_u64 v[10:11], v[16:17], 0, s[6:7]
	v_mul_f32_e32 v16, v25, v19
	v_fmac_f32_e32 v16, v24, v18
	v_cvt_f64_f32_e32 v[16:17], v16
	v_mul_f64 v[16:17], v[16:17], s[0:1]
	global_store_dwordx2 v[10:11], v[20:21], off
	v_cvt_f32_f64_e32 v20, v[16:17]
	v_mul_f32_e32 v16, v25, v18
	v_fma_f32 v16, v24, v19, -v16
	v_cvt_f64_f32_e32 v[24:25], v16
	ds_read2_b64 v[16:19], v50 offset0:68 offset1:128
	v_mul_f64 v[24:25], v[24:25], s[0:1]
	v_cvt_f32_f64_e32 v21, v[24:25]
	v_accvgpr_read_b32 v24, a48
	v_lshl_add_u64 v[10:11], v[10:11], 0, s[6:7]
	v_accvgpr_read_b32 v25, a49
	global_store_dwordx2 v[10:11], v[20:21], off
	s_waitcnt lgkmcnt(0)
	v_mul_f32_e32 v20, v25, v17
	v_fmac_f32_e32 v20, v24, v16
	v_mul_f32_e32 v16, v25, v16
	v_fma_f32 v16, v24, v17, -v16
	v_cvt_f64_f32_e32 v[20:21], v20
	v_cvt_f64_f32_e32 v[16:17], v16
	v_mul_f64 v[20:21], v[20:21], s[0:1]
	v_mul_f64 v[16:17], v[16:17], s[0:1]
	v_cvt_f32_f64_e32 v20, v[20:21]
	v_cvt_f32_f64_e32 v21, v[16:17]
	v_lshl_add_u64 v[10:11], v[10:11], 0, s[6:7]
	global_store_dwordx2 v[10:11], v[20:21], off
	v_accvgpr_read_b32 v20, a64
	v_accvgpr_read_b32 v21, a65
	v_mul_f32_e32 v16, v21, v23
	v_fmac_f32_e32 v16, v20, v22
	v_cvt_f64_f32_e32 v[16:17], v16
	v_mul_f64 v[16:17], v[16:17], s[0:1]
	v_cvt_f32_f64_e32 v16, v[16:17]
	v_mul_f32_e32 v17, v21, v22
	v_fma_f32 v17, v20, v23, -v17
	ds_read2_b64 v[20:23], v70 offset0:116 offset1:176
	v_cvt_f64_f32_e32 v[24:25], v17
	v_mul_f64 v[24:25], v[24:25], s[0:1]
	v_cvt_f32_f64_e32 v17, v[24:25]
	v_accvgpr_read_b32 v24, a44
	v_lshl_add_u64 v[10:11], v[10:11], 0, s[6:7]
	v_accvgpr_read_b32 v25, a45
	global_store_dwordx2 v[10:11], v[16:17], off
	s_waitcnt lgkmcnt(0)
	v_mul_f32_e32 v16, v25, v21
	v_fmac_f32_e32 v16, v24, v20
	v_cvt_f64_f32_e32 v[16:17], v16
	v_mul_f64 v[16:17], v[16:17], s[0:1]
	v_cvt_f32_f64_e32 v16, v[16:17]
	v_mul_f32_e32 v17, v25, v20
	v_fma_f32 v17, v24, v21, -v17
	v_cvt_f64_f32_e32 v[20:21], v17
	v_mul_f64 v[20:21], v[20:21], s[0:1]
	v_cvt_f32_f64_e32 v17, v[20:21]
	v_accvgpr_read_b32 v20, a60
	v_lshl_add_u64 v[10:11], v[10:11], 0, s[6:7]
	v_accvgpr_read_b32 v21, a61
	global_store_dwordx2 v[10:11], v[16:17], off
	v_mul_f32_e32 v16, v21, v27
	v_fmac_f32_e32 v16, v20, v26
	v_cvt_f64_f32_e32 v[16:17], v16
	v_mul_f64 v[16:17], v[16:17], s[0:1]
	v_cvt_f32_f64_e32 v16, v[16:17]
	v_mul_f32_e32 v17, v21, v26
	v_fma_f32 v17, v20, v27, -v17
	ds_read2_b64 v[24:27], v150 offset0:36 offset1:96
	v_cvt_f64_f32_e32 v[20:21], v17
	v_mul_f64 v[20:21], v[20:21], s[0:1]
	v_cvt_f32_f64_e32 v17, v[20:21]
	v_accvgpr_read_b32 v20, a58
	v_lshl_add_u64 v[10:11], v[10:11], 0, s[6:7]
	v_accvgpr_read_b32 v21, a59
	global_store_dwordx2 v[10:11], v[16:17], off
	s_waitcnt lgkmcnt(0)
	v_mul_f32_e32 v16, v21, v25
	v_fmac_f32_e32 v16, v20, v24
	v_cvt_f64_f32_e32 v[16:17], v16
	v_mul_f64 v[16:17], v[16:17], s[0:1]
	v_cvt_f32_f64_e32 v16, v[16:17]
	v_mul_f32_e32 v17, v21, v24
	v_fma_f32 v17, v20, v25, -v17
	v_cvt_f64_f32_e32 v[20:21], v17
	v_mul_f64 v[20:21], v[20:21], s[0:1]
	v_cvt_f32_f64_e32 v17, v[20:21]
	v_accvgpr_read_b32 v20, a54
	v_lshl_add_u64 v[10:11], v[10:11], 0, s[6:7]
	v_accvgpr_read_b32 v21, a55
	global_store_dwordx2 v[10:11], v[16:17], off
	v_mul_f32_e32 v16, v21, v31
	v_fmac_f32_e32 v16, v20, v30
	v_cvt_f64_f32_e32 v[16:17], v16
	v_mul_f64 v[16:17], v[16:17], s[0:1]
	v_cvt_f32_f64_e32 v16, v[16:17]
	v_mul_f32_e32 v17, v21, v30
	v_fma_f32 v17, v20, v31, -v17
	ds_read2_b64 v[28:31], v84 offset0:84 offset1:144
	v_cvt_f64_f32_e32 v[20:21], v17
	v_mul_f64 v[20:21], v[20:21], s[0:1]
	v_cvt_f32_f64_e32 v17, v[20:21]
	v_accvgpr_read_b32 v20, a56
	v_lshl_add_u64 v[10:11], v[10:11], 0, s[6:7]
	v_accvgpr_read_b32 v21, a57
	global_store_dwordx2 v[10:11], v[16:17], off
	s_waitcnt lgkmcnt(0)
	v_mul_f32_e32 v16, v21, v29
	v_fmac_f32_e32 v16, v20, v28
	v_cvt_f64_f32_e32 v[16:17], v16
	v_mul_f64 v[16:17], v[16:17], s[0:1]
	v_cvt_f32_f64_e32 v16, v[16:17]
	v_mul_f32_e32 v17, v21, v28
	v_fma_f32 v17, v20, v29, -v17
	v_cvt_f64_f32_e32 v[20:21], v17
	v_mul_f64 v[20:21], v[20:21], s[0:1]
	v_cvt_f32_f64_e32 v17, v[20:21]
	v_lshl_add_u64 v[10:11], v[10:11], 0, s[6:7]
	v_accvgpr_read_b32 v21, a3
	global_store_dwordx2 v[10:11], v[16:17], off
	v_accvgpr_read_b32 v20, a2
	v_mul_f32_e32 v16, v21, v1
	v_fmac_f32_e32 v16, v20, v0
	v_mul_f32_e32 v0, v21, v0
	v_fma_f32 v0, v20, v1, -v0
	v_cvt_f64_f32_e32 v[16:17], v16
	v_cvt_f64_f32_e32 v[0:1], v0
	v_mul_f64 v[16:17], v[16:17], s[0:1]
	v_mul_f64 v[0:1], v[0:1], s[0:1]
	v_cvt_f32_f64_e32 v16, v[16:17]
	v_cvt_f32_f64_e32 v17, v[0:1]
	v_lshl_add_u64 v[0:1], v[10:11], 0, s[10:11]
	global_store_dwordx2 v[0:1], v[16:17], off
	v_accvgpr_read_b32 v17, a5
	v_accvgpr_read_b32 v16, a4
	v_mul_f32_e32 v10, v17, v13
	v_fmac_f32_e32 v10, v16, v12
	v_cvt_f64_f32_e32 v[10:11], v10
	v_mul_f64 v[10:11], v[10:11], s[0:1]
	v_cvt_f32_f64_e32 v10, v[10:11]
	v_mul_f32_e32 v11, v17, v12
	v_fma_f32 v11, v16, v13, -v11
	v_cvt_f64_f32_e32 v[12:13], v11
	v_mul_f64 v[12:13], v[12:13], s[0:1]
	v_cvt_f32_f64_e32 v11, v[12:13]
	v_lshl_add_u64 v[0:1], v[0:1], 0, s[6:7]
	v_accvgpr_read_b32 v13, a7
	global_store_dwordx2 v[0:1], v[10:11], off
	v_accvgpr_read_b32 v12, a6
	v_mul_f32_e32 v10, v13, v3
	v_fmac_f32_e32 v10, v12, v2
	v_mul_f32_e32 v2, v13, v2
	v_fma_f32 v2, v12, v3, -v2
	v_cvt_f64_f32_e32 v[10:11], v10
	v_cvt_f64_f32_e32 v[2:3], v2
	v_mul_f64 v[10:11], v[10:11], s[0:1]
	v_mul_f64 v[2:3], v[2:3], s[0:1]
	v_cvt_f32_f64_e32 v10, v[10:11]
	v_cvt_f32_f64_e32 v11, v[2:3]
	v_lshl_add_u64 v[0:1], v[0:1], 0, s[6:7]
	global_store_dwordx2 v[0:1], v[10:11], off
	v_accvgpr_read_b32 v10, a46
	v_accvgpr_read_b32 v11, a47
	v_mul_f32_e32 v2, v11, v19
	v_fmac_f32_e32 v2, v10, v18
	v_cvt_f64_f32_e32 v[2:3], v2
	v_mul_f64 v[2:3], v[2:3], s[0:1]
	v_cvt_f32_f64_e32 v2, v[2:3]
	v_mul_f32_e32 v3, v11, v18
	v_fma_f32 v3, v10, v19, -v3
	v_cvt_f64_f32_e32 v[10:11], v3
	v_mul_f64 v[10:11], v[10:11], s[0:1]
	v_accvgpr_read_b32 v13, a19
	v_cvt_f32_f64_e32 v3, v[10:11]
	v_mad_u64_u32 v[10:11], s[10:11], s4, v13, 0
	v_mov_b32_e32 v12, v11
	v_mad_u64_u32 v[12:13], s[10:11], s5, v13, v[12:13]
	v_mov_b32_e32 v11, v12
	v_lshl_add_u64 v[10:11], v[10:11], 3, v[14:15]
	global_store_dwordx2 v[10:11], v[2:3], off
	v_accvgpr_read_b32 v10, a40
	v_accvgpr_read_b32 v11, a41
	v_mul_f32_e32 v2, v11, v5
	v_fmac_f32_e32 v2, v10, v4
	v_cvt_f64_f32_e32 v[2:3], v2
	v_mul_f64 v[2:3], v[2:3], s[0:1]
	v_cvt_f32_f64_e32 v2, v[2:3]
	v_mul_f32_e32 v3, v11, v4
	v_fma_f32 v3, v10, v5, -v3
	v_cvt_f64_f32_e32 v[4:5], v3
	v_mul_f64 v[4:5], v[4:5], s[0:1]
	v_cvt_f32_f64_e32 v3, v[4:5]
	v_mad_u64_u32 v[0:1], s[4:5], s4, v32, v[0:1]
	v_accvgpr_read_b32 v4, a8
	v_add_u32_e32 v1, s15, v1
	v_accvgpr_read_b32 v5, a9
	global_store_dwordx2 v[0:1], v[2:3], off
	v_mul_f32_e32 v2, v5, v23
	v_fmac_f32_e32 v2, v4, v22
	v_cvt_f64_f32_e32 v[2:3], v2
	v_mul_f64 v[2:3], v[2:3], s[0:1]
	v_cvt_f32_f64_e32 v2, v[2:3]
	v_mul_f32_e32 v3, v5, v22
	v_fma_f32 v3, v4, v23, -v3
	v_cvt_f64_f32_e32 v[4:5], v3
	v_mul_f64 v[4:5], v[4:5], s[0:1]
	v_cvt_f32_f64_e32 v3, v[4:5]
	v_accvgpr_read_b32 v4, a10
	v_lshl_add_u64 v[0:1], v[0:1], 0, s[6:7]
	v_accvgpr_read_b32 v5, a11
	global_store_dwordx2 v[0:1], v[2:3], off
	v_mul_f32_e32 v2, v5, v7
	v_fmac_f32_e32 v2, v4, v6
	v_cvt_f64_f32_e32 v[2:3], v2
	v_mul_f64 v[2:3], v[2:3], s[0:1]
	v_cvt_f32_f64_e32 v2, v[2:3]
	v_mul_f32_e32 v3, v5, v6
	v_fma_f32 v3, v4, v7, -v3
	v_cvt_f64_f32_e32 v[4:5], v3
	v_mul_f64 v[4:5], v[4:5], s[0:1]
	v_cvt_f32_f64_e32 v3, v[4:5]
	v_accvgpr_read_b32 v4, a12
	v_lshl_add_u64 v[0:1], v[0:1], 0, s[6:7]
	;; [unrolled: 14-line block ×4, first 2 shown]
	v_accvgpr_read_b32 v5, a29
	global_store_dwordx2 v[0:1], v[2:3], off
	v_mul_f32_e32 v2, v5, v31
	v_fmac_f32_e32 v2, v4, v30
	v_cvt_f64_f32_e32 v[2:3], v2
	v_mul_f64 v[2:3], v[2:3], s[0:1]
	v_cvt_f32_f64_e32 v2, v[2:3]
	v_mul_f32_e32 v3, v5, v30
	v_fma_f32 v3, v4, v31, -v3
	v_cvt_f64_f32_e32 v[4:5], v3
	v_mul_f64 v[4:5], v[4:5], s[0:1]
	s_movk_i32 s12, 0x3000
	s_movk_i32 s13, 0x2000
	v_cvt_f32_f64_e32 v3, v[4:5]
	v_lshl_add_u64 v[0:1], v[0:1], 0, s[6:7]
	global_store_dwordx2 v[0:1], v[2:3], off
	s_and_b64 exec, exec, s[2:3]
	s_cbranch_execz .LBB0_15
; %bb.14:
	v_accvgpr_read_b32 v13, a1
	v_accvgpr_read_b32 v12, a0
	global_load_dwordx2 v[6:7], v[12:13], off offset:1440
	v_add_u32_e32 v2, 0x500, v216
	ds_read2_b64 v[2:5], v2 offset0:20 offset1:236
	v_lshl_add_u64 v[0:1], s[8:9], 3, v[0:1]
	s_movk_i32 s2, 0x4000
	s_waitcnt vmcnt(0) lgkmcnt(0)
	v_mul_f32_e32 v8, v3, v7
	v_mul_f32_e32 v7, v2, v7
	v_fmac_f32_e32 v8, v2, v6
	v_fma_f32 v6, v6, v3, -v7
	v_cvt_f64_f32_e32 v[2:3], v8
	v_cvt_f64_f32_e32 v[6:7], v6
	v_mul_f64 v[2:3], v[2:3], s[0:1]
	v_mul_f64 v[6:7], v[6:7], s[0:1]
	v_cvt_f32_f64_e32 v2, v[2:3]
	v_cvt_f32_f64_e32 v3, v[6:7]
	global_store_dwordx2 v[0:1], v[2:3], off
	global_load_dwordx2 v[2:3], v[12:13], off offset:3168
	v_lshl_add_u64 v[8:9], v[0:1], 0, s[6:7]
	v_add_co_u32_e32 v6, vcc, s14, v12
	s_waitcnt vmcnt(0)
	v_mul_f32_e32 v0, v5, v3
	v_mul_f32_e32 v1, v4, v3
	v_fmac_f32_e32 v0, v4, v2
	v_fma_f32 v2, v2, v5, -v1
	v_cvt_f64_f32_e32 v[0:1], v0
	v_cvt_f64_f32_e32 v[2:3], v2
	v_mul_f64 v[0:1], v[0:1], s[0:1]
	v_mul_f64 v[2:3], v[2:3], s[0:1]
	v_cvt_f32_f64_e32 v0, v[0:1]
	v_cvt_f32_f64_e32 v1, v[2:3]
	v_addc_co_u32_e32 v7, vcc, 0, v13, vcc
	global_store_dwordx2 v[8:9], v[0:1], off
	global_load_dwordx2 v[4:5], v[6:7], off offset:800
	v_add_u32_e32 v0, 0x1200, v216
	ds_read2_b64 v[0:3], v0 offset0:36 offset1:252
	v_lshl_add_u64 v[8:9], v[8:9], 0, s[6:7]
	s_waitcnt vmcnt(0) lgkmcnt(0)
	v_mul_f32_e32 v10, v1, v5
	v_mul_f32_e32 v5, v0, v5
	v_fmac_f32_e32 v10, v0, v4
	v_fma_f32 v4, v4, v1, -v5
	v_cvt_f64_f32_e32 v[0:1], v10
	v_cvt_f64_f32_e32 v[4:5], v4
	v_mul_f64 v[0:1], v[0:1], s[0:1]
	v_mul_f64 v[4:5], v[4:5], s[0:1]
	v_cvt_f32_f64_e32 v0, v[0:1]
	v_cvt_f32_f64_e32 v1, v[4:5]
	global_store_dwordx2 v[8:9], v[0:1], off
	global_load_dwordx2 v[0:1], v[6:7], off offset:2528
	v_lshl_add_u64 v[6:7], v[8:9], 0, s[6:7]
	v_add_co_u32_e32 v4, vcc, s13, v12
	s_waitcnt vmcnt(0)
	v_mul_f32_e32 v8, v3, v1
	v_mul_f32_e32 v1, v2, v1
	v_fmac_f32_e32 v8, v2, v0
	v_fma_f32 v2, v0, v3, -v1
	v_cvt_f64_f32_e32 v[0:1], v8
	v_cvt_f64_f32_e32 v[2:3], v2
	v_mul_f64 v[0:1], v[0:1], s[0:1]
	v_mul_f64 v[2:3], v[2:3], s[0:1]
	v_cvt_f32_f64_e32 v0, v[0:1]
	v_cvt_f32_f64_e32 v1, v[2:3]
	v_addc_co_u32_e32 v5, vcc, 0, v13, vcc
	global_store_dwordx2 v[6:7], v[0:1], off
	global_load_dwordx2 v[8:9], v[4:5], off offset:160
	ds_read2_b64 v[0:3], v70 offset0:20 offset1:236
	v_lshl_add_u64 v[6:7], v[6:7], 0, s[6:7]
	s_waitcnt vmcnt(0) lgkmcnt(0)
	v_mul_f32_e32 v10, v1, v9
	v_mul_f32_e32 v9, v0, v9
	v_fmac_f32_e32 v10, v0, v8
	v_fma_f32 v8, v8, v1, -v9
	v_cvt_f64_f32_e32 v[0:1], v10
	v_cvt_f64_f32_e32 v[8:9], v8
	v_mul_f64 v[0:1], v[0:1], s[0:1]
	v_mul_f64 v[8:9], v[8:9], s[0:1]
	v_cvt_f32_f64_e32 v0, v[0:1]
	v_cvt_f32_f64_e32 v1, v[8:9]
	global_store_dwordx2 v[6:7], v[0:1], off
	global_load_dwordx2 v[0:1], v[4:5], off offset:1888
	v_lshl_add_u64 v[6:7], v[6:7], 0, s[6:7]
	s_waitcnt vmcnt(0)
	v_mul_f32_e32 v8, v3, v1
	v_mul_f32_e32 v1, v2, v1
	v_fmac_f32_e32 v8, v2, v0
	v_fma_f32 v2, v0, v3, -v1
	v_cvt_f64_f32_e32 v[0:1], v8
	v_cvt_f64_f32_e32 v[2:3], v2
	v_mul_f64 v[0:1], v[0:1], s[0:1]
	v_mul_f64 v[2:3], v[2:3], s[0:1]
	v_cvt_f32_f64_e32 v0, v[0:1]
	v_cvt_f32_f64_e32 v1, v[2:3]
	global_store_dwordx2 v[6:7], v[0:1], off
	global_load_dwordx2 v[4:5], v[4:5], off offset:3616
	v_add_u32_e32 v0, 0x2e00, v216
	ds_read2_b64 v[0:3], v0 offset0:4 offset1:220
	v_add_co_u32_e32 v8, vcc, s12, v12
	v_lshl_add_u64 v[6:7], v[6:7], 0, s[6:7]
	s_nop 0
	v_addc_co_u32_e32 v9, vcc, 0, v13, vcc
	s_waitcnt vmcnt(0) lgkmcnt(0)
	v_mul_f32_e32 v10, v1, v5
	v_mul_f32_e32 v5, v0, v5
	v_fmac_f32_e32 v10, v0, v4
	v_fma_f32 v4, v4, v1, -v5
	v_cvt_f64_f32_e32 v[0:1], v10
	v_cvt_f64_f32_e32 v[4:5], v4
	v_mul_f64 v[0:1], v[0:1], s[0:1]
	v_mul_f64 v[4:5], v[4:5], s[0:1]
	v_cvt_f32_f64_e32 v0, v[0:1]
	v_cvt_f32_f64_e32 v1, v[4:5]
	global_store_dwordx2 v[6:7], v[0:1], off
	global_load_dwordx2 v[0:1], v[8:9], off offset:1248
	v_lshl_add_u64 v[4:5], v[6:7], 0, s[6:7]
	s_waitcnt vmcnt(0)
	v_mul_f32_e32 v6, v3, v1
	v_mul_f32_e32 v1, v2, v1
	v_fmac_f32_e32 v6, v2, v0
	v_fma_f32 v2, v0, v3, -v1
	v_cvt_f64_f32_e32 v[0:1], v6
	v_cvt_f64_f32_e32 v[2:3], v2
	v_mul_f64 v[0:1], v[0:1], s[0:1]
	v_mul_f64 v[2:3], v[2:3], s[0:1]
	v_cvt_f32_f64_e32 v0, v[0:1]
	v_cvt_f32_f64_e32 v1, v[2:3]
	global_store_dwordx2 v[4:5], v[0:1], off
	global_load_dwordx2 v[6:7], v[8:9], off offset:2976
	v_add_u32_e32 v0, 0x3b00, v216
	ds_read2_b64 v[0:3], v0 offset0:20 offset1:236
	v_add_co_u32_e32 v8, vcc, s2, v12
	v_lshl_add_u64 v[4:5], v[4:5], 0, s[6:7]
	s_nop 0
	v_addc_co_u32_e32 v9, vcc, 0, v13, vcc
	s_waitcnt vmcnt(0) lgkmcnt(0)
	v_mul_f32_e32 v10, v1, v7
	v_mul_f32_e32 v7, v0, v7
	v_fmac_f32_e32 v10, v0, v6
	v_fma_f32 v6, v6, v1, -v7
	v_cvt_f64_f32_e32 v[0:1], v10
	v_cvt_f64_f32_e32 v[6:7], v6
	v_mul_f64 v[0:1], v[0:1], s[0:1]
	v_mul_f64 v[6:7], v[6:7], s[0:1]
	v_cvt_f32_f64_e32 v0, v[0:1]
	v_cvt_f32_f64_e32 v1, v[6:7]
	global_store_dwordx2 v[4:5], v[0:1], off
	global_load_dwordx2 v[0:1], v[8:9], off offset:608
	s_waitcnt vmcnt(0)
	v_mul_f32_e32 v6, v3, v1
	v_mul_f32_e32 v1, v2, v1
	v_fmac_f32_e32 v6, v2, v0
	v_fma_f32 v2, v0, v3, -v1
	v_cvt_f64_f32_e32 v[0:1], v6
	v_cvt_f64_f32_e32 v[2:3], v2
	v_mul_f64 v[0:1], v[0:1], s[0:1]
	v_mul_f64 v[2:3], v[2:3], s[0:1]
	v_cvt_f32_f64_e32 v0, v[0:1]
	v_cvt_f32_f64_e32 v1, v[2:3]
	v_lshl_add_u64 v[2:3], v[4:5], 0, s[6:7]
	global_store_dwordx2 v[2:3], v[0:1], off
.LBB0_15:
	s_endpgm
	.section	.rodata,"a",@progbits
	.p2align	6, 0x0
	.amdhsa_kernel bluestein_single_back_len2160_dim1_sp_op_CI_CI
		.amdhsa_group_segment_fixed_size 17280
		.amdhsa_private_segment_fixed_size 0
		.amdhsa_kernarg_size 104
		.amdhsa_user_sgpr_count 2
		.amdhsa_user_sgpr_dispatch_ptr 0
		.amdhsa_user_sgpr_queue_ptr 0
		.amdhsa_user_sgpr_kernarg_segment_ptr 1
		.amdhsa_user_sgpr_dispatch_id 0
		.amdhsa_user_sgpr_kernarg_preload_length 0
		.amdhsa_user_sgpr_kernarg_preload_offset 0
		.amdhsa_user_sgpr_private_segment_size 0
		.amdhsa_uses_dynamic_stack 0
		.amdhsa_enable_private_segment 0
		.amdhsa_system_sgpr_workgroup_id_x 1
		.amdhsa_system_sgpr_workgroup_id_y 0
		.amdhsa_system_sgpr_workgroup_id_z 0
		.amdhsa_system_sgpr_workgroup_info 0
		.amdhsa_system_vgpr_workitem_id 0
		.amdhsa_next_free_vgpr 492
		.amdhsa_next_free_sgpr 28
		.amdhsa_accum_offset 256
		.amdhsa_reserve_vcc 1
		.amdhsa_float_round_mode_32 0
		.amdhsa_float_round_mode_16_64 0
		.amdhsa_float_denorm_mode_32 3
		.amdhsa_float_denorm_mode_16_64 3
		.amdhsa_dx10_clamp 1
		.amdhsa_ieee_mode 1
		.amdhsa_fp16_overflow 0
		.amdhsa_tg_split 0
		.amdhsa_exception_fp_ieee_invalid_op 0
		.amdhsa_exception_fp_denorm_src 0
		.amdhsa_exception_fp_ieee_div_zero 0
		.amdhsa_exception_fp_ieee_overflow 0
		.amdhsa_exception_fp_ieee_underflow 0
		.amdhsa_exception_fp_ieee_inexact 0
		.amdhsa_exception_int_div_zero 0
	.end_amdhsa_kernel
	.text
.Lfunc_end0:
	.size	bluestein_single_back_len2160_dim1_sp_op_CI_CI, .Lfunc_end0-bluestein_single_back_len2160_dim1_sp_op_CI_CI
                                        ; -- End function
	.section	.AMDGPU.csdata,"",@progbits
; Kernel info:
; codeLenInByte = 38924
; NumSgprs: 34
; NumVgprs: 256
; NumAgprs: 236
; TotalNumVgprs: 492
; ScratchSize: 0
; MemoryBound: 0
; FloatMode: 240
; IeeeMode: 1
; LDSByteSize: 17280 bytes/workgroup (compile time only)
; SGPRBlocks: 4
; VGPRBlocks: 61
; NumSGPRsForWavesPerEU: 34
; NumVGPRsForWavesPerEU: 492
; AccumOffset: 256
; Occupancy: 1
; WaveLimiterHint : 1
; COMPUTE_PGM_RSRC2:SCRATCH_EN: 0
; COMPUTE_PGM_RSRC2:USER_SGPR: 2
; COMPUTE_PGM_RSRC2:TRAP_HANDLER: 0
; COMPUTE_PGM_RSRC2:TGID_X_EN: 1
; COMPUTE_PGM_RSRC2:TGID_Y_EN: 0
; COMPUTE_PGM_RSRC2:TGID_Z_EN: 0
; COMPUTE_PGM_RSRC2:TIDIG_COMP_CNT: 0
; COMPUTE_PGM_RSRC3_GFX90A:ACCUM_OFFSET: 63
; COMPUTE_PGM_RSRC3_GFX90A:TG_SPLIT: 0
	.text
	.p2alignl 6, 3212836864
	.fill 256, 4, 3212836864
	.type	__hip_cuid_53d26a23d8622c43,@object ; @__hip_cuid_53d26a23d8622c43
	.section	.bss,"aw",@nobits
	.globl	__hip_cuid_53d26a23d8622c43
__hip_cuid_53d26a23d8622c43:
	.byte	0                               ; 0x0
	.size	__hip_cuid_53d26a23d8622c43, 1

	.ident	"AMD clang version 19.0.0git (https://github.com/RadeonOpenCompute/llvm-project roc-6.4.0 25133 c7fe45cf4b819c5991fe208aaa96edf142730f1d)"
	.section	".note.GNU-stack","",@progbits
	.addrsig
	.addrsig_sym __hip_cuid_53d26a23d8622c43
	.amdgpu_metadata
---
amdhsa.kernels:
  - .agpr_count:     236
    .args:
      - .actual_access:  read_only
        .address_space:  global
        .offset:         0
        .size:           8
        .value_kind:     global_buffer
      - .actual_access:  read_only
        .address_space:  global
        .offset:         8
        .size:           8
        .value_kind:     global_buffer
      - .actual_access:  read_only
        .address_space:  global
        .offset:         16
        .size:           8
        .value_kind:     global_buffer
      - .actual_access:  read_only
        .address_space:  global
        .offset:         24
        .size:           8
        .value_kind:     global_buffer
      - .actual_access:  read_only
        .address_space:  global
        .offset:         32
        .size:           8
        .value_kind:     global_buffer
      - .offset:         40
        .size:           8
        .value_kind:     by_value
      - .address_space:  global
        .offset:         48
        .size:           8
        .value_kind:     global_buffer
      - .address_space:  global
        .offset:         56
        .size:           8
        .value_kind:     global_buffer
      - .address_space:  global
        .offset:         64
        .size:           8
        .value_kind:     global_buffer
      - .address_space:  global
        .offset:         72
        .size:           8
        .value_kind:     global_buffer
      - .offset:         80
        .size:           4
        .value_kind:     by_value
      - .address_space:  global
        .offset:         88
        .size:           8
        .value_kind:     global_buffer
      - .address_space:  global
        .offset:         96
        .size:           8
        .value_kind:     global_buffer
    .group_segment_fixed_size: 17280
    .kernarg_segment_align: 8
    .kernarg_segment_size: 104
    .language:       OpenCL C
    .language_version:
      - 2
      - 0
    .max_flat_workgroup_size: 60
    .name:           bluestein_single_back_len2160_dim1_sp_op_CI_CI
    .private_segment_fixed_size: 0
    .sgpr_count:     34
    .sgpr_spill_count: 0
    .symbol:         bluestein_single_back_len2160_dim1_sp_op_CI_CI.kd
    .uniform_work_group_size: 1
    .uses_dynamic_stack: false
    .vgpr_count:     492
    .vgpr_spill_count: 0
    .wavefront_size: 64
amdhsa.target:   amdgcn-amd-amdhsa--gfx950
amdhsa.version:
  - 1
  - 2
...

	.end_amdgpu_metadata
